;; amdgpu-corpus repo=pytorch/pytorch kind=compiled arch=gfx90a opt=O3
	.text
	.amdgcn_target "amdgcn-amd-amdhsa--gfx90a"
	.amdhsa_code_object_version 6
	.section	.text._ZN7rocprim17ROCPRIM_304000_NS6detail28radix_sort_block_sort_kernelINS1_36wrapped_radix_sort_block_sort_configINS0_13kernel_configILj256ELj4ELj4294967295EEEtN2at4cuda3cub6detail10OpaqueTypeILi8EEEEELb1EPKtPtPKSB_PSB_NS0_19identity_decomposerEEEvT1_T2_T3_T4_jT5_jj,"axG",@progbits,_ZN7rocprim17ROCPRIM_304000_NS6detail28radix_sort_block_sort_kernelINS1_36wrapped_radix_sort_block_sort_configINS0_13kernel_configILj256ELj4ELj4294967295EEEtN2at4cuda3cub6detail10OpaqueTypeILi8EEEEELb1EPKtPtPKSB_PSB_NS0_19identity_decomposerEEEvT1_T2_T3_T4_jT5_jj,comdat
	.protected	_ZN7rocprim17ROCPRIM_304000_NS6detail28radix_sort_block_sort_kernelINS1_36wrapped_radix_sort_block_sort_configINS0_13kernel_configILj256ELj4ELj4294967295EEEtN2at4cuda3cub6detail10OpaqueTypeILi8EEEEELb1EPKtPtPKSB_PSB_NS0_19identity_decomposerEEEvT1_T2_T3_T4_jT5_jj ; -- Begin function _ZN7rocprim17ROCPRIM_304000_NS6detail28radix_sort_block_sort_kernelINS1_36wrapped_radix_sort_block_sort_configINS0_13kernel_configILj256ELj4ELj4294967295EEEtN2at4cuda3cub6detail10OpaqueTypeILi8EEEEELb1EPKtPtPKSB_PSB_NS0_19identity_decomposerEEEvT1_T2_T3_T4_jT5_jj
	.globl	_ZN7rocprim17ROCPRIM_304000_NS6detail28radix_sort_block_sort_kernelINS1_36wrapped_radix_sort_block_sort_configINS0_13kernel_configILj256ELj4ELj4294967295EEEtN2at4cuda3cub6detail10OpaqueTypeILi8EEEEELb1EPKtPtPKSB_PSB_NS0_19identity_decomposerEEEvT1_T2_T3_T4_jT5_jj
	.p2align	8
	.type	_ZN7rocprim17ROCPRIM_304000_NS6detail28radix_sort_block_sort_kernelINS1_36wrapped_radix_sort_block_sort_configINS0_13kernel_configILj256ELj4ELj4294967295EEEtN2at4cuda3cub6detail10OpaqueTypeILi8EEEEELb1EPKtPtPKSB_PSB_NS0_19identity_decomposerEEEvT1_T2_T3_T4_jT5_jj,@function
_ZN7rocprim17ROCPRIM_304000_NS6detail28radix_sort_block_sort_kernelINS1_36wrapped_radix_sort_block_sort_configINS0_13kernel_configILj256ELj4ELj4294967295EEEtN2at4cuda3cub6detail10OpaqueTypeILi8EEEEELb1EPKtPtPKSB_PSB_NS0_19identity_decomposerEEEvT1_T2_T3_T4_jT5_jj: ; @_ZN7rocprim17ROCPRIM_304000_NS6detail28radix_sort_block_sort_kernelINS1_36wrapped_radix_sort_block_sort_configINS0_13kernel_configILj256ELj4ELj4294967295EEEtN2at4cuda3cub6detail10OpaqueTypeILi8EEEEELb1EPKtPtPKSB_PSB_NS0_19identity_decomposerEEEvT1_T2_T3_T4_jT5_jj
; %bb.0:
	s_load_dword s2, s[4:5], 0x20
	s_load_dwordx8 s[36:43], s[4:5], 0x0
	s_lshl_b32 s28, s6, 10
	s_mov_b32 s29, 0
	v_mbcnt_lo_u32_b32 v1, -1, 0
	s_waitcnt lgkmcnt(0)
	s_lshr_b32 s0, s2, 10
	s_cmp_lg_u32 s6, s0
	s_cselect_b64 s[30:31], -1, 0
	s_lshl_b64 s[34:35], s[28:29], 1
	v_and_b32_e32 v8, 0x3ff, v0
	s_add_u32 s1, s36, s34
	v_mbcnt_hi_u32_b32 v1, -1, v1
	s_addc_u32 s3, s37, s35
	v_lshlrev_b32_e32 v6, 2, v8
	v_lshlrev_b32_e32 v2, 1, v1
	v_and_b32_e32 v7, 0x300, v6
	v_mov_b32_e32 v3, s3
	v_add_co_u32_e32 v2, vcc, s1, v2
	v_addc_co_u32_e32 v3, vcc, 0, v3, vcc
	v_lshlrev_b32_e32 v4, 1, v7
	v_add_co_u32_e32 v4, vcc, v2, v4
	s_cmp_eq_u32 s6, s0
	v_addc_co_u32_e32 v5, vcc, 0, v3, vcc
	v_lshlrev_b32_e32 v13, 3, v1
	v_lshlrev_b32_e32 v12, 3, v7
	v_add_u32_e32 v9, v1, v7
	s_cbranch_scc1 .LBB0_2
; %bb.1:
	s_lshl_b64 s[0:1], s[28:29], 3
	s_add_u32 s0, s40, s0
	s_addc_u32 s1, s41, s1
	v_mov_b32_e32 v2, s1
	v_add_co_u32_e32 v3, vcc, s0, v13
	v_addc_co_u32_e32 v16, vcc, 0, v2, vcc
	v_add_co_u32_e32 v2, vcc, v3, v12
	v_addc_co_u32_e32 v3, vcc, 0, v16, vcc
	global_load_ushort v10, v[4:5], off
	global_load_ushort v11, v[4:5], off offset:128
	global_load_ushort v14, v[4:5], off offset:256
	;; [unrolled: 1-line block ×3, first 2 shown]
	global_load_dwordx2 v[20:21], v[2:3], off
	global_load_dwordx2 v[22:23], v[2:3], off offset:512
	global_load_dwordx2 v[24:25], v[2:3], off offset:1024
	;; [unrolled: 1-line block ×3, first 2 shown]
	s_mov_b32 s0, 0x5040100
	s_waitcnt vmcnt(6)
	v_perm_b32 v2, v11, v10, s0
	s_waitcnt vmcnt(4)
	v_perm_b32 v3, v15, v14, s0
	v_add_u32_e32 v14, v1, v7
	v_add_u32_e32 v7, 64, v14
	;; [unrolled: 1-line block ×4, first 2 shown]
	s_sub_i32 s33, s2, s28
	s_cbranch_execz .LBB0_3
	s_branch .LBB0_17
.LBB0_2:
                                        ; implicit-def: $vgpr2_vgpr3
                                        ; implicit-def: $vgpr20_vgpr21
                                        ; implicit-def: $vgpr22_vgpr23
                                        ; implicit-def: $vgpr24_vgpr25
                                        ; implicit-def: $vgpr26_vgpr27
                                        ; implicit-def: $vgpr14
                                        ; implicit-def: $vgpr7
                                        ; implicit-def: $vgpr10
                                        ; implicit-def: $vgpr11
	s_sub_i32 s33, s2, s28
.LBB0_3:
	s_mov_b32 s0, 0
	s_mov_b32 s1, s0
	v_cmp_gt_u32_e32 vcc, s33, v9
	v_pk_mov_b32 v[2:3], s[0:1], s[0:1] op_sel:[0,1]
	s_and_saveexec_b64 s[0:1], vcc
	s_cbranch_execz .LBB0_5
; %bb.4:
	global_load_ushort v2, v[4:5], off
	v_mov_b32_e32 v3, 0
	s_waitcnt vmcnt(0)
	v_and_b32_e32 v2, 0xffff, v2
.LBB0_5:
	s_or_b64 exec, exec, s[0:1]
	v_add_u32_e32 v7, 64, v9
	v_cmp_gt_u32_e64 s[0:1], s33, v7
	s_and_saveexec_b64 s[2:3], s[0:1]
	s_cbranch_execz .LBB0_7
; %bb.6:
	global_load_ushort v10, v[4:5], off offset:128
	s_mov_b32 s6, 0x5040100
	s_waitcnt vmcnt(0)
	v_perm_b32 v2, v10, v2, s6
.LBB0_7:
	s_or_b64 exec, exec, s[2:3]
	v_add_u32_e32 v10, 0x80, v9
	v_cmp_gt_u32_e64 s[2:3], s33, v10
	s_and_saveexec_b64 s[6:7], s[2:3]
	s_cbranch_execz .LBB0_9
; %bb.8:
	global_load_ushort v11, v[4:5], off offset:256
	s_mov_b32 s8, 0xffff
	s_waitcnt vmcnt(0)
	v_bfi_b32 v3, s8, v11, v3
.LBB0_9:
	s_or_b64 exec, exec, s[6:7]
	v_add_u32_e32 v11, 0xc0, v9
	v_cmp_gt_u32_e64 s[6:7], s33, v11
	s_and_saveexec_b64 s[8:9], s[6:7]
	s_cbranch_execz .LBB0_11
; %bb.10:
	global_load_ushort v4, v[4:5], off offset:384
	s_mov_b32 s10, 0x5040100
	s_waitcnt vmcnt(0)
	v_perm_b32 v3, v4, v3, s10
.LBB0_11:
	s_or_b64 exec, exec, s[8:9]
	s_lshl_b64 s[8:9], s[28:29], 3
	s_add_u32 s8, s40, s8
	s_addc_u32 s9, s41, s9
	v_mov_b32_e32 v4, s9
	v_add_co_u32_e64 v5, s[8:9], s8, v13
	v_addc_co_u32_e64 v13, s[8:9], 0, v4, s[8:9]
	v_add_co_u32_e64 v4, s[8:9], v5, v12
	v_addc_co_u32_e64 v5, s[8:9], 0, v13, s[8:9]
                                        ; implicit-def: $vgpr20_vgpr21
	s_and_saveexec_b64 s[8:9], vcc
	s_cbranch_execnz .LBB0_54
; %bb.12:
	s_or_b64 exec, exec, s[8:9]
                                        ; implicit-def: $vgpr22_vgpr23
	s_and_saveexec_b64 s[8:9], s[0:1]
	s_cbranch_execnz .LBB0_55
.LBB0_13:
	s_or_b64 exec, exec, s[8:9]
                                        ; implicit-def: $vgpr24_vgpr25
	s_and_saveexec_b64 s[0:1], s[2:3]
	s_cbranch_execnz .LBB0_56
.LBB0_14:
	s_or_b64 exec, exec, s[0:1]
                                        ; implicit-def: $vgpr26_vgpr27
	s_and_saveexec_b64 s[0:1], s[6:7]
	s_cbranch_execz .LBB0_16
.LBB0_15:
	global_load_dwordx2 v[26:27], v[4:5], off offset:1536
.LBB0_16:
	s_or_b64 exec, exec, s[0:1]
	v_mov_b32_e32 v14, v9
.LBB0_17:
	s_load_dwordx2 s[36:37], s[4:5], 0x28
	s_load_dword s0, s[4:5], 0x3c
	v_xor_b32_e32 v48, -1, v3
	v_bfe_u32 v3, v0, 10, 10
	v_bfe_u32 v0, v0, 20, 10
	s_mov_b32 s26, 0
	s_waitcnt lgkmcnt(0)
	s_lshr_b32 s1, s0, 16
	s_and_b32 s0, s0, 0xffff
	v_mad_u32_u24 v0, v0, s1, v3
	v_mad_u64_u32 v[4:5], s[0:1], v0, s0, v[8:9]
	v_and_b32_e32 v0, 15, v1
	v_cmp_eq_u32_e64 s[0:1], 0, v0
	v_cmp_lt_u32_e64 s[2:3], 1, v0
	v_cmp_lt_u32_e64 s[4:5], 3, v0
	;; [unrolled: 1-line block ×3, first 2 shown]
	v_and_b32_e32 v0, 16, v1
	v_cmp_eq_u32_e64 s[8:9], 0, v0
	v_and_b32_e32 v0, 0x3c0, v8
	v_min_u32_e32 v0, 0xc0, v0
	v_or_b32_e32 v0, 63, v0
	v_cmp_eq_u32_e64 s[12:13], v0, v8
	v_add_u32_e32 v0, -1, v1
	v_and_b32_e32 v3, 64, v1
	v_cmp_lt_i32_e32 vcc, v0, v3
	v_cndmask_b32_e32 v0, v0, v1, vcc
	v_cmp_lt_u32_e64 s[10:11], 31, v1
	v_lshlrev_b32_e32 v31, 2, v0
	v_cmp_eq_u32_e64 s[18:19], 0, v1
	v_lshrrev_b32_e32 v0, 4, v8
	v_and_b32_e32 v1, 3, v1
	v_lshlrev_b32_e32 v9, 2, v6
	v_lshrrev_b32_e32 v29, 6, v4
	v_and_b32_e32 v32, 60, v0
	v_mul_i32_i24_e32 v0, -12, v8
	v_cmp_eq_u32_e64 s[22:23], 0, v1
	v_cmp_lt_u32_e64 s[24:25], 1, v1
	v_lshlrev_b32_e32 v34, 1, v14
	v_lshlrev_b32_e32 v35, 1, v7
	;; [unrolled: 1-line block ×4, first 2 shown]
	v_mul_lo_u32 v1, v14, 6
	v_mul_lo_u32 v3, v7, 6
	;; [unrolled: 1-line block ×4, first 2 shown]
	s_mov_b32 s27, s26
	s_mov_b32 s44, s26
	;; [unrolled: 1-line block ×3, first 2 shown]
	s_add_i32 s40, s37, s36
	v_cmp_gt_u32_e64 s[14:15], 4, v8
	v_cmp_lt_u32_e64 s[16:17], 63, v8
	v_cmp_eq_u32_e64 s[20:21], 0, v8
	v_add_u32_e32 v33, -4, v32
	v_xor_b32_e32 v44, -1, v2
	v_pk_mov_b32 v[12:13], s[26:27], s[26:27] op_sel:[0,1]
	v_pk_mov_b32 v[16:17], s[44:45], s[44:45] op_sel:[0,1]
	v_add_u32_e32 v38, v9, v0
	v_add_u32_e32 v39, v34, v1
	;; [unrolled: 1-line block ×5, first 2 shown]
	s_mov_b32 s41, 0x5040100
	v_mov_b32_e32 v18, 0
	s_branch .LBB0_19
.LBB0_18:                               ;   in Loop: Header=BB0_19 Depth=1
	v_mad_u64_u32 v[20:21], s[26:27], v47, 6, v[30:31]
	s_barrier
	ds_write_b16 v30, v44
	ds_write_b16 v28, v45
	;; [unrolled: 1-line block ×4, first 2 shown]
	s_waitcnt lgkmcnt(0)
	s_barrier
	ds_read_u16 v44, v34
	ds_read_u16 v48, v35
	;; [unrolled: 1-line block ×4, first 2 shown]
	s_waitcnt lgkmcnt(0)
	s_barrier
	ds_write_b64 v20, v[14:15]
	v_mad_u64_u32 v[20:21], s[26:27], v19, 6, v[28:29]
	ds_write_b64 v20, v[10:11]
	v_mad_u64_u32 v[20:21], s[26:27], v3, 6, v[2:3]
	;; [unrolled: 2-line block ×3, first 2 shown]
	ds_write_b64 v20, v[4:5]
	s_waitcnt lgkmcnt(0)
	s_barrier
	ds_read_b64 v[20:21], v39
	ds_read_b64 v[22:23], v40
	;; [unrolled: 1-line block ×4, first 2 shown]
	v_perm_b32 v44, v48, v44, s41
	v_perm_b32 v48, v51, v50, s41
	s_add_i32 s37, s37, -8
	s_waitcnt lgkmcnt(0)
	s_barrier
	s_cbranch_execz .LBB0_35
.LBB0_19:                               ; =>This Inner Loop Header: Depth=1
	s_min_u32 s26, s37, 8
	s_lshl_b32 s26, -1, s26
	s_not_b32 s44, s26
	v_lshrrev_b32_sdwa v0, s36, v44 dst_sel:DWORD dst_unused:UNUSED_PAD src0_sel:DWORD src1_sel:WORD_0
	v_and_b32_e32 v0, s44, v0
	v_lshl_add_u32 v1, v0, 2, v29
	s_waitcnt vmcnt(0)
	v_pk_mov_b32 v[14:15], v[20:21], v[20:21] op_sel:[0,1]
	v_lshl_add_u32 v20, v1, 2, 16
	v_and_b32_e32 v1, 1, v0
	v_add_co_u32_e32 v2, vcc, -1, v1
	v_addc_co_u32_e64 v3, s[26:27], 0, -1, vcc
	v_cmp_ne_u32_e32 vcc, 0, v1
	v_lshlrev_b32_e32 v19, 30, v0
	v_xor_b32_e32 v1, vcc_hi, v3
	v_not_b32_e32 v3, v19
	v_xor_b32_e32 v2, vcc_lo, v2
	v_cmp_gt_i64_e32 vcc, 0, v[18:19]
	v_ashrrev_i32_e32 v3, 31, v3
	v_and_b32_e32 v1, exec_hi, v1
	v_xor_b32_e32 v19, vcc_hi, v3
	v_and_b32_e32 v2, exec_lo, v2
	v_xor_b32_e32 v3, vcc_lo, v3
	v_and_b32_e32 v1, v1, v19
	v_lshlrev_b32_e32 v19, 29, v0
	v_and_b32_e32 v2, v2, v3
	v_not_b32_e32 v3, v19
	v_cmp_gt_i64_e32 vcc, 0, v[18:19]
	v_ashrrev_i32_e32 v3, 31, v3
	v_xor_b32_e32 v19, vcc_hi, v3
	v_xor_b32_e32 v3, vcc_lo, v3
	v_and_b32_e32 v1, v1, v19
	v_lshlrev_b32_e32 v19, 28, v0
	v_and_b32_e32 v2, v2, v3
	v_not_b32_e32 v3, v19
	v_cmp_gt_i64_e32 vcc, 0, v[18:19]
	v_ashrrev_i32_e32 v3, 31, v3
	v_xor_b32_e32 v19, vcc_hi, v3
	;; [unrolled: 8-line block ×5, first 2 shown]
	v_and_b32_e32 v1, v1, v19
	v_lshlrev_b32_e32 v19, 24, v0
	v_not_b32_e32 v0, v19
	v_xor_b32_e32 v3, vcc_lo, v3
	v_cmp_gt_i64_e32 vcc, 0, v[18:19]
	v_ashrrev_i32_e32 v0, 31, v0
	v_and_b32_e32 v2, v2, v3
	v_xor_b32_e32 v3, vcc_hi, v0
	v_xor_b32_e32 v0, vcc_lo, v0
	v_and_b32_e32 v0, v2, v0
	v_and_b32_e32 v1, v1, v3
	v_mbcnt_lo_u32_b32 v2, v0, 0
	v_mbcnt_hi_u32_b32 v21, v1, v2
	v_cmp_eq_u32_e32 vcc, 0, v21
	v_cmp_ne_u64_e64 s[26:27], 0, v[0:1]
	v_mov_b32_e32 v43, v48
	v_pk_mov_b32 v[10:11], v[22:23], v[22:23] op_sel:[0,1]
	v_pk_mov_b32 v[6:7], v[24:25], v[24:25] op_sel:[0,1]
	;; [unrolled: 1-line block ×3, first 2 shown]
	s_and_b64 s[46:47], s[26:27], vcc
	ds_write2_b64 v9, v[12:13], v[16:17] offset0:2 offset1:3
	s_waitcnt lgkmcnt(0)
	s_barrier
	s_waitcnt lgkmcnt(0)
	; wave barrier
	s_and_saveexec_b64 s[26:27], s[46:47]
	s_cbranch_execz .LBB0_21
; %bb.20:                               ;   in Loop: Header=BB0_19 Depth=1
	v_bcnt_u32_b32 v0, v0, 0
	v_bcnt_u32_b32 v0, v1, v0
	ds_write_b32 v20, v0
.LBB0_21:                               ;   in Loop: Header=BB0_19 Depth=1
	s_or_b64 exec, exec, s[26:27]
	v_lshrrev_b32_e32 v45, 16, v44
	v_lshrrev_b32_e32 v0, s36, v45
	v_and_b32_e32 v0, s44, v0
	v_lshlrev_b32_e32 v1, 2, v0
	v_add_lshl_u32 v1, v1, v29, 2
	; wave barrier
	v_add_u32_e32 v23, 16, v1
	ds_read_b32 v22, v1 offset:16
	v_and_b32_e32 v1, 1, v0
	v_add_co_u32_e32 v2, vcc, -1, v1
	v_addc_co_u32_e64 v3, s[26:27], 0, -1, vcc
	v_cmp_ne_u32_e32 vcc, 0, v1
	v_lshlrev_b32_e32 v19, 30, v0
	v_xor_b32_e32 v1, vcc_hi, v3
	v_not_b32_e32 v3, v19
	v_xor_b32_e32 v2, vcc_lo, v2
	v_cmp_gt_i64_e32 vcc, 0, v[18:19]
	v_ashrrev_i32_e32 v3, 31, v3
	v_and_b32_e32 v1, exec_hi, v1
	v_xor_b32_e32 v19, vcc_hi, v3
	v_and_b32_e32 v2, exec_lo, v2
	v_xor_b32_e32 v3, vcc_lo, v3
	v_and_b32_e32 v1, v1, v19
	v_lshlrev_b32_e32 v19, 29, v0
	v_and_b32_e32 v2, v2, v3
	v_not_b32_e32 v3, v19
	v_cmp_gt_i64_e32 vcc, 0, v[18:19]
	v_ashrrev_i32_e32 v3, 31, v3
	v_xor_b32_e32 v19, vcc_hi, v3
	v_xor_b32_e32 v3, vcc_lo, v3
	v_and_b32_e32 v1, v1, v19
	v_lshlrev_b32_e32 v19, 28, v0
	v_and_b32_e32 v2, v2, v3
	v_not_b32_e32 v3, v19
	v_cmp_gt_i64_e32 vcc, 0, v[18:19]
	v_ashrrev_i32_e32 v3, 31, v3
	v_xor_b32_e32 v19, vcc_hi, v3
	v_xor_b32_e32 v3, vcc_lo, v3
	v_and_b32_e32 v1, v1, v19
	v_lshlrev_b32_e32 v19, 27, v0
	v_and_b32_e32 v2, v2, v3
	v_not_b32_e32 v3, v19
	v_cmp_gt_i64_e32 vcc, 0, v[18:19]
	v_ashrrev_i32_e32 v3, 31, v3
	v_xor_b32_e32 v19, vcc_hi, v3
	v_xor_b32_e32 v3, vcc_lo, v3
	v_and_b32_e32 v1, v1, v19
	v_lshlrev_b32_e32 v19, 26, v0
	v_and_b32_e32 v2, v2, v3
	v_not_b32_e32 v3, v19
	v_cmp_gt_i64_e32 vcc, 0, v[18:19]
	v_ashrrev_i32_e32 v3, 31, v3
	v_xor_b32_e32 v19, vcc_hi, v3
	v_xor_b32_e32 v3, vcc_lo, v3
	v_and_b32_e32 v1, v1, v19
	v_lshlrev_b32_e32 v19, 25, v0
	v_and_b32_e32 v2, v2, v3
	v_not_b32_e32 v3, v19
	v_cmp_gt_i64_e32 vcc, 0, v[18:19]
	v_ashrrev_i32_e32 v3, 31, v3
	v_xor_b32_e32 v19, vcc_hi, v3
	v_and_b32_e32 v1, v1, v19
	v_lshlrev_b32_e32 v19, 24, v0
	v_not_b32_e32 v0, v19
	v_xor_b32_e32 v3, vcc_lo, v3
	v_cmp_gt_i64_e32 vcc, 0, v[18:19]
	v_ashrrev_i32_e32 v0, 31, v0
	v_and_b32_e32 v2, v2, v3
	v_xor_b32_e32 v3, vcc_hi, v0
	v_xor_b32_e32 v0, vcc_lo, v0
	v_and_b32_e32 v0, v2, v0
	v_and_b32_e32 v1, v1, v3
	v_mbcnt_lo_u32_b32 v2, v0, 0
	v_mbcnt_hi_u32_b32 v24, v1, v2
	v_cmp_eq_u32_e32 vcc, 0, v24
	v_cmp_ne_u64_e64 s[26:27], 0, v[0:1]
	s_and_b64 s[46:47], s[26:27], vcc
	; wave barrier
	s_and_saveexec_b64 s[26:27], s[46:47]
	s_cbranch_execz .LBB0_23
; %bb.22:                               ;   in Loop: Header=BB0_19 Depth=1
	v_bcnt_u32_b32 v0, v0, 0
	v_bcnt_u32_b32 v0, v1, v0
	s_waitcnt lgkmcnt(0)
	v_add_u32_e32 v0, v22, v0
	ds_write_b32 v23, v0
.LBB0_23:                               ;   in Loop: Header=BB0_19 Depth=1
	s_or_b64 exec, exec, s[26:27]
	v_lshrrev_b32_sdwa v0, s36, v43 dst_sel:DWORD dst_unused:UNUSED_PAD src0_sel:DWORD src1_sel:WORD_0
	v_and_b32_e32 v0, s44, v0
	v_lshlrev_b32_e32 v1, 2, v0
	v_add_lshl_u32 v1, v1, v29, 2
	; wave barrier
	v_add_u32_e32 v26, 16, v1
	ds_read_b32 v25, v1 offset:16
	v_and_b32_e32 v1, 1, v0
	v_add_co_u32_e32 v2, vcc, -1, v1
	v_addc_co_u32_e64 v3, s[26:27], 0, -1, vcc
	v_cmp_ne_u32_e32 vcc, 0, v1
	v_lshlrev_b32_e32 v19, 30, v0
	v_xor_b32_e32 v1, vcc_hi, v3
	v_not_b32_e32 v3, v19
	v_xor_b32_e32 v2, vcc_lo, v2
	v_cmp_gt_i64_e32 vcc, 0, v[18:19]
	v_ashrrev_i32_e32 v3, 31, v3
	v_and_b32_e32 v1, exec_hi, v1
	v_xor_b32_e32 v19, vcc_hi, v3
	v_and_b32_e32 v2, exec_lo, v2
	v_xor_b32_e32 v3, vcc_lo, v3
	v_and_b32_e32 v1, v1, v19
	v_lshlrev_b32_e32 v19, 29, v0
	v_and_b32_e32 v2, v2, v3
	v_not_b32_e32 v3, v19
	v_cmp_gt_i64_e32 vcc, 0, v[18:19]
	v_ashrrev_i32_e32 v3, 31, v3
	v_xor_b32_e32 v19, vcc_hi, v3
	v_xor_b32_e32 v3, vcc_lo, v3
	v_and_b32_e32 v1, v1, v19
	v_lshlrev_b32_e32 v19, 28, v0
	v_and_b32_e32 v2, v2, v3
	v_not_b32_e32 v3, v19
	v_cmp_gt_i64_e32 vcc, 0, v[18:19]
	v_ashrrev_i32_e32 v3, 31, v3
	v_xor_b32_e32 v19, vcc_hi, v3
	;; [unrolled: 8-line block ×5, first 2 shown]
	v_and_b32_e32 v1, v1, v19
	v_lshlrev_b32_e32 v19, 24, v0
	v_not_b32_e32 v0, v19
	v_xor_b32_e32 v3, vcc_lo, v3
	v_cmp_gt_i64_e32 vcc, 0, v[18:19]
	v_ashrrev_i32_e32 v0, 31, v0
	v_and_b32_e32 v2, v2, v3
	v_xor_b32_e32 v3, vcc_hi, v0
	v_xor_b32_e32 v0, vcc_lo, v0
	v_and_b32_e32 v0, v2, v0
	v_and_b32_e32 v1, v1, v3
	v_mbcnt_lo_u32_b32 v2, v0, 0
	v_mbcnt_hi_u32_b32 v27, v1, v2
	v_cmp_eq_u32_e32 vcc, 0, v27
	v_cmp_ne_u64_e64 s[26:27], 0, v[0:1]
	s_and_b64 s[46:47], s[26:27], vcc
	; wave barrier
	s_and_saveexec_b64 s[26:27], s[46:47]
	s_cbranch_execz .LBB0_25
; %bb.24:                               ;   in Loop: Header=BB0_19 Depth=1
	v_bcnt_u32_b32 v0, v0, 0
	v_bcnt_u32_b32 v0, v1, v0
	s_waitcnt lgkmcnt(0)
	v_add_u32_e32 v0, v25, v0
	ds_write_b32 v26, v0
.LBB0_25:                               ;   in Loop: Header=BB0_19 Depth=1
	s_or_b64 exec, exec, s[26:27]
	v_lshrrev_b32_e32 v46, 16, v43
	v_lshrrev_b32_e32 v0, s36, v46
	v_and_b32_e32 v0, s44, v0
	v_lshlrev_b32_e32 v1, 2, v0
	v_add_lshl_u32 v1, v1, v29, 2
	; wave barrier
	v_add_u32_e32 v30, 16, v1
	ds_read_b32 v28, v1 offset:16
	v_and_b32_e32 v1, 1, v0
	v_add_co_u32_e32 v2, vcc, -1, v1
	v_addc_co_u32_e64 v3, s[26:27], 0, -1, vcc
	v_cmp_ne_u32_e32 vcc, 0, v1
	v_lshlrev_b32_e32 v19, 30, v0
	v_xor_b32_e32 v1, vcc_hi, v3
	v_not_b32_e32 v3, v19
	v_xor_b32_e32 v2, vcc_lo, v2
	v_cmp_gt_i64_e32 vcc, 0, v[18:19]
	v_ashrrev_i32_e32 v3, 31, v3
	v_and_b32_e32 v1, exec_hi, v1
	v_xor_b32_e32 v19, vcc_hi, v3
	v_and_b32_e32 v2, exec_lo, v2
	v_xor_b32_e32 v3, vcc_lo, v3
	v_and_b32_e32 v1, v1, v19
	v_lshlrev_b32_e32 v19, 29, v0
	v_and_b32_e32 v2, v2, v3
	v_not_b32_e32 v3, v19
	v_cmp_gt_i64_e32 vcc, 0, v[18:19]
	v_ashrrev_i32_e32 v3, 31, v3
	v_xor_b32_e32 v19, vcc_hi, v3
	v_xor_b32_e32 v3, vcc_lo, v3
	v_and_b32_e32 v1, v1, v19
	v_lshlrev_b32_e32 v19, 28, v0
	v_and_b32_e32 v2, v2, v3
	v_not_b32_e32 v3, v19
	v_cmp_gt_i64_e32 vcc, 0, v[18:19]
	v_ashrrev_i32_e32 v3, 31, v3
	v_xor_b32_e32 v19, vcc_hi, v3
	;; [unrolled: 8-line block ×5, first 2 shown]
	v_and_b32_e32 v1, v1, v19
	v_lshlrev_b32_e32 v19, 24, v0
	v_not_b32_e32 v0, v19
	v_xor_b32_e32 v3, vcc_lo, v3
	v_cmp_gt_i64_e32 vcc, 0, v[18:19]
	v_ashrrev_i32_e32 v0, 31, v0
	v_and_b32_e32 v2, v2, v3
	v_xor_b32_e32 v3, vcc_hi, v0
	v_xor_b32_e32 v0, vcc_lo, v0
	v_and_b32_e32 v0, v2, v0
	v_and_b32_e32 v1, v1, v3
	v_mbcnt_lo_u32_b32 v2, v0, 0
	v_mbcnt_hi_u32_b32 v48, v1, v2
	v_cmp_eq_u32_e32 vcc, 0, v48
	v_cmp_ne_u64_e64 s[26:27], 0, v[0:1]
	s_and_b64 s[44:45], s[26:27], vcc
	; wave barrier
	s_and_saveexec_b64 s[26:27], s[44:45]
	s_cbranch_execz .LBB0_27
; %bb.26:                               ;   in Loop: Header=BB0_19 Depth=1
	v_bcnt_u32_b32 v0, v0, 0
	v_bcnt_u32_b32 v0, v1, v0
	s_waitcnt lgkmcnt(0)
	v_add_u32_e32 v0, v28, v0
	ds_write_b32 v30, v0
.LBB0_27:                               ;   in Loop: Header=BB0_19 Depth=1
	s_or_b64 exec, exec, s[26:27]
	; wave barrier
	s_waitcnt lgkmcnt(0)
	s_barrier
	ds_read2_b64 v[0:3], v9 offset0:2 offset1:3
	s_waitcnt lgkmcnt(0)
	v_add_u32_e32 v19, v1, v0
	v_add3_u32 v3, v19, v2, v3
	s_nop 1
	v_mov_b32_dpp v19, v3 row_shr:1 row_mask:0xf bank_mask:0xf
	v_cndmask_b32_e64 v19, v19, 0, s[0:1]
	v_add_u32_e32 v3, v19, v3
	s_nop 1
	v_mov_b32_dpp v19, v3 row_shr:2 row_mask:0xf bank_mask:0xf
	v_cndmask_b32_e64 v19, 0, v19, s[2:3]
	v_add_u32_e32 v3, v3, v19
	;; [unrolled: 4-line block ×4, first 2 shown]
	s_nop 1
	v_mov_b32_dpp v19, v3 row_bcast:15 row_mask:0xf bank_mask:0xf
	v_cndmask_b32_e64 v19, v19, 0, s[8:9]
	v_add_u32_e32 v3, v3, v19
	s_nop 1
	v_mov_b32_dpp v19, v3 row_bcast:31 row_mask:0xf bank_mask:0xf
	v_cndmask_b32_e64 v19, 0, v19, s[10:11]
	v_add_u32_e32 v3, v3, v19
	s_and_saveexec_b64 s[26:27], s[12:13]
	s_cbranch_execz .LBB0_29
; %bb.28:                               ;   in Loop: Header=BB0_19 Depth=1
	ds_write_b32 v32, v3
.LBB0_29:                               ;   in Loop: Header=BB0_19 Depth=1
	s_or_b64 exec, exec, s[26:27]
	s_waitcnt lgkmcnt(0)
	s_barrier
	s_and_saveexec_b64 s[26:27], s[14:15]
	s_cbranch_execz .LBB0_31
; %bb.30:                               ;   in Loop: Header=BB0_19 Depth=1
	ds_read_b32 v19, v38
	s_waitcnt lgkmcnt(0)
	s_nop 0
	v_mov_b32_dpp v47, v19 row_shr:1 row_mask:0xf bank_mask:0xf
	v_cndmask_b32_e64 v47, v47, 0, s[22:23]
	v_add_u32_e32 v19, v47, v19
	s_nop 1
	v_mov_b32_dpp v47, v19 row_shr:2 row_mask:0xf bank_mask:0xf
	v_cndmask_b32_e64 v47, 0, v47, s[24:25]
	v_add_u32_e32 v19, v19, v47
	ds_write_b32 v38, v19
.LBB0_31:                               ;   in Loop: Header=BB0_19 Depth=1
	s_or_b64 exec, exec, s[26:27]
	v_mov_b32_e32 v19, 0
	s_waitcnt lgkmcnt(0)
	s_barrier
	s_and_saveexec_b64 s[26:27], s[16:17]
	s_cbranch_execz .LBB0_33
; %bb.32:                               ;   in Loop: Header=BB0_19 Depth=1
	ds_read_b32 v19, v33
.LBB0_33:                               ;   in Loop: Header=BB0_19 Depth=1
	s_or_b64 exec, exec, s[26:27]
	s_waitcnt lgkmcnt(0)
	v_add_u32_e32 v3, v19, v3
	ds_bpermute_b32 v3, v31, v3
	s_add_i32 s36, s36, 8
	v_mov_b32_e32 v49, v44
	s_cmp_ge_u32 s36, s40
	s_waitcnt lgkmcnt(0)
	v_cndmask_b32_e64 v3, v3, v19, s[18:19]
	v_cndmask_b32_e64 v50, v3, 0, s[20:21]
	v_add_u32_e32 v51, v50, v0
	v_add_u32_e32 v0, v51, v1
	;; [unrolled: 1-line block ×3, first 2 shown]
	ds_write2_b64 v9, v[50:51], v[0:1] offset0:2 offset1:3
	s_waitcnt lgkmcnt(0)
	s_barrier
	ds_read_b32 v0, v20
	ds_read_b32 v1, v23
	;; [unrolled: 1-line block ×4, first 2 shown]
	s_waitcnt lgkmcnt(0)
	v_add_u32_e32 v47, v0, v21
	v_add3_u32 v19, v24, v22, v1
	v_add3_u32 v3, v27, v25, v2
	v_add3_u32 v1, v48, v28, v20
	v_lshlrev_b32_e32 v30, 1, v47
	v_lshlrev_b32_e32 v28, 1, v19
	v_lshlrev_b32_e32 v2, 1, v3
	v_lshlrev_b32_e32 v0, 1, v1
	s_cbranch_scc0 .LBB0_18
; %bb.34:
                                        ; implicit-def: $vgpr48
                                        ; implicit-def: $vgpr44
                                        ; implicit-def: $sgpr36
                                        ; implicit-def: $vgpr20_vgpr21
                                        ; implicit-def: $vgpr22_vgpr23
                                        ; implicit-def: $vgpr24_vgpr25
                                        ; implicit-def: $vgpr26_vgpr27
.LBB0_35:
	v_lshlrev_b32_e32 v16, 1, v8
	v_mad_u64_u32 v[12:13], s[0:1], v47, 6, v[30:31]
	s_barrier
	ds_write_b16 v30, v49
	ds_write_b16 v28, v45
	;; [unrolled: 1-line block ×4, first 2 shown]
	s_waitcnt lgkmcnt(0)
	s_barrier
	ds_read_u16 v9, v16
	ds_read_u16 v17, v16 offset:512
	ds_read_u16 v18, v16 offset:1024
	;; [unrolled: 1-line block ×3, first 2 shown]
	s_waitcnt lgkmcnt(0)
	s_barrier
	ds_write_b64 v12, v[14:15]
	v_mad_u64_u32 v[12:13], s[0:1], v19, 6, v[28:29]
	v_mad_u64_u32 v[2:3], s[0:1], v3, 6, v[2:3]
	;; [unrolled: 1-line block ×3, first 2 shown]
	ds_write_b64 v12, v[10:11]
	ds_write_b64 v2, v[6:7]
	;; [unrolled: 1-line block ×3, first 2 shown]
	v_mad_u32_u24 v0, v8, 6, v16
	s_waitcnt lgkmcnt(0)
	s_barrier
	ds_read2st64_b64 v[4:7], v0 offset1:4
	ds_read2st64_b64 v[0:3], v0 offset0:8 offset1:12
	s_add_u32 s0, s38, s34
	s_addc_u32 s1, s39, s35
	v_mov_b32_e32 v11, s1
	v_add_co_u32_e32 v10, vcc, s0, v16
	v_addc_co_u32_e32 v11, vcc, 0, v11, vcc
	v_xor_b32_e32 v15, -1, v9
	v_xor_b32_e32 v14, -1, v17
	;; [unrolled: 1-line block ×4, first 2 shown]
	s_andn2_b64 vcc, exec, s[30:31]
	v_lshlrev_b32_e32 v12, 3, v8
	s_cbranch_vccnz .LBB0_37
; %bb.36:
	s_lshl_b64 s[0:1], s[28:29], 3
	s_add_u32 s0, s42, s0
	s_addc_u32 s1, s43, s1
	v_mov_b32_e32 v16, s1
	v_add_co_u32_e32 v17, vcc, s0, v12
	v_addc_co_u32_e32 v18, vcc, 0, v16, vcc
	v_add_co_u32_e32 v16, vcc, 0x1000, v17
	global_store_short v[10:11], v15, off
	global_store_short v[10:11], v14, off offset:512
	global_store_short v[10:11], v13, off offset:1024
	;; [unrolled: 1-line block ×3, first 2 shown]
	s_waitcnt lgkmcnt(1)
	global_store_dwordx2 v12, v[4:5], s[0:1]
	global_store_dwordx2 v12, v[6:7], s[0:1] offset:2048
	v_addc_co_u32_e32 v17, vcc, 0, v18, vcc
	s_mov_b64 s[6:7], -1
	s_waitcnt lgkmcnt(0)
	global_store_dwordx2 v[16:17], v[0:1], off
	s_cbranch_execz .LBB0_38
	s_branch .LBB0_51
.LBB0_37:
	s_mov_b64 s[6:7], 0
.LBB0_38:
	v_cmp_gt_u32_e32 vcc, s33, v8
	s_and_saveexec_b64 s[0:1], vcc
	s_cbranch_execz .LBB0_40
; %bb.39:
	global_store_short v[10:11], v15, off
.LBB0_40:
	s_or_b64 exec, exec, s[0:1]
	v_add_u32_e32 v15, 0x100, v8
	v_cmp_gt_u32_e64 s[0:1], s33, v15
	s_and_saveexec_b64 s[2:3], s[0:1]
	s_cbranch_execz .LBB0_42
; %bb.41:
	global_store_short v[10:11], v14, off offset:512
.LBB0_42:
	s_or_b64 exec, exec, s[2:3]
	v_add_u32_e32 v14, 0x200, v8
	v_cmp_gt_u32_e64 s[2:3], s33, v14
	s_and_saveexec_b64 s[4:5], s[2:3]
	s_cbranch_execz .LBB0_44
; %bb.43:
	global_store_short v[10:11], v13, off offset:1024
.LBB0_44:
	;; [unrolled: 8-line block ×3, first 2 shown]
	s_or_b64 exec, exec, s[4:5]
	s_lshl_b64 s[4:5], s[28:29], 3
	s_add_u32 s4, s42, s4
	s_addc_u32 s5, s43, s5
	v_mov_b32_e32 v9, s5
	v_add_co_u32_e64 v8, s[4:5], s4, v12
	v_addc_co_u32_e64 v9, s[4:5], 0, v9, s[4:5]
	s_and_saveexec_b64 s[4:5], vcc
	s_cbranch_execnz .LBB0_57
; %bb.47:
	s_or_b64 exec, exec, s[4:5]
	s_and_saveexec_b64 s[4:5], s[0:1]
	s_cbranch_execnz .LBB0_58
.LBB0_48:
	s_or_b64 exec, exec, s[4:5]
	s_and_saveexec_b64 s[0:1], s[2:3]
	s_cbranch_execz .LBB0_50
.LBB0_49:
	s_waitcnt lgkmcnt(1)
	v_add_co_u32_e32 v4, vcc, 0x1000, v8
	v_addc_co_u32_e32 v5, vcc, 0, v9, vcc
	s_waitcnt lgkmcnt(0)
	global_store_dwordx2 v[4:5], v[0:1], off
.LBB0_50:
	s_or_b64 exec, exec, s[0:1]
.LBB0_51:
	s_and_saveexec_b64 s[0:1], s[6:7]
	s_cbranch_execnz .LBB0_53
; %bb.52:
	s_endpgm
.LBB0_53:
	s_lshl_b64 s[0:1], s[28:29], 3
	s_add_u32 s0, s42, s0
	s_addc_u32 s1, s43, s1
	s_waitcnt lgkmcnt(0)
	v_mov_b32_e32 v0, s1
	v_add_co_u32_e32 v1, vcc, s0, v12
	v_addc_co_u32_e32 v4, vcc, 0, v0, vcc
	v_add_co_u32_e32 v0, vcc, 0x1000, v1
	v_addc_co_u32_e32 v1, vcc, 0, v4, vcc
	global_store_dwordx2 v[0:1], v[2:3], off offset:2048
	s_endpgm
.LBB0_54:
	global_load_dwordx2 v[20:21], v[4:5], off
	s_or_b64 exec, exec, s[8:9]
                                        ; implicit-def: $vgpr22_vgpr23
	s_and_saveexec_b64 s[8:9], s[0:1]
	s_cbranch_execz .LBB0_13
.LBB0_55:
	global_load_dwordx2 v[22:23], v[4:5], off offset:512
	s_or_b64 exec, exec, s[8:9]
                                        ; implicit-def: $vgpr24_vgpr25
	s_and_saveexec_b64 s[0:1], s[2:3]
	s_cbranch_execz .LBB0_14
.LBB0_56:
	global_load_dwordx2 v[24:25], v[4:5], off offset:1024
	s_or_b64 exec, exec, s[0:1]
                                        ; implicit-def: $vgpr26_vgpr27
	s_and_saveexec_b64 s[0:1], s[6:7]
	s_cbranch_execnz .LBB0_15
	s_branch .LBB0_16
.LBB0_57:
	s_waitcnt lgkmcnt(1)
	global_store_dwordx2 v[8:9], v[4:5], off
	s_or_b64 exec, exec, s[4:5]
	s_and_saveexec_b64 s[4:5], s[0:1]
	s_cbranch_execz .LBB0_48
.LBB0_58:
	s_waitcnt lgkmcnt(1)
	global_store_dwordx2 v[8:9], v[6:7], off offset:2048
	s_or_b64 exec, exec, s[4:5]
	s_and_saveexec_b64 s[0:1], s[2:3]
	s_cbranch_execnz .LBB0_49
	s_branch .LBB0_50
	.section	.rodata,"a",@progbits
	.p2align	6, 0x0
	.amdhsa_kernel _ZN7rocprim17ROCPRIM_304000_NS6detail28radix_sort_block_sort_kernelINS1_36wrapped_radix_sort_block_sort_configINS0_13kernel_configILj256ELj4ELj4294967295EEEtN2at4cuda3cub6detail10OpaqueTypeILi8EEEEELb1EPKtPtPKSB_PSB_NS0_19identity_decomposerEEEvT1_T2_T3_T4_jT5_jj
		.amdhsa_group_segment_fixed_size 8192
		.amdhsa_private_segment_fixed_size 0
		.amdhsa_kernarg_size 304
		.amdhsa_user_sgpr_count 6
		.amdhsa_user_sgpr_private_segment_buffer 1
		.amdhsa_user_sgpr_dispatch_ptr 0
		.amdhsa_user_sgpr_queue_ptr 0
		.amdhsa_user_sgpr_kernarg_segment_ptr 1
		.amdhsa_user_sgpr_dispatch_id 0
		.amdhsa_user_sgpr_flat_scratch_init 0
		.amdhsa_user_sgpr_kernarg_preload_length 0
		.amdhsa_user_sgpr_kernarg_preload_offset 0
		.amdhsa_user_sgpr_private_segment_size 0
		.amdhsa_uses_dynamic_stack 0
		.amdhsa_system_sgpr_private_segment_wavefront_offset 0
		.amdhsa_system_sgpr_workgroup_id_x 1
		.amdhsa_system_sgpr_workgroup_id_y 0
		.amdhsa_system_sgpr_workgroup_id_z 0
		.amdhsa_system_sgpr_workgroup_info 0
		.amdhsa_system_vgpr_workitem_id 2
		.amdhsa_next_free_vgpr 52
		.amdhsa_next_free_sgpr 48
		.amdhsa_accum_offset 52
		.amdhsa_reserve_vcc 1
		.amdhsa_reserve_flat_scratch 0
		.amdhsa_float_round_mode_32 0
		.amdhsa_float_round_mode_16_64 0
		.amdhsa_float_denorm_mode_32 3
		.amdhsa_float_denorm_mode_16_64 3
		.amdhsa_dx10_clamp 1
		.amdhsa_ieee_mode 1
		.amdhsa_fp16_overflow 0
		.amdhsa_tg_split 0
		.amdhsa_exception_fp_ieee_invalid_op 0
		.amdhsa_exception_fp_denorm_src 0
		.amdhsa_exception_fp_ieee_div_zero 0
		.amdhsa_exception_fp_ieee_overflow 0
		.amdhsa_exception_fp_ieee_underflow 0
		.amdhsa_exception_fp_ieee_inexact 0
		.amdhsa_exception_int_div_zero 0
	.end_amdhsa_kernel
	.section	.text._ZN7rocprim17ROCPRIM_304000_NS6detail28radix_sort_block_sort_kernelINS1_36wrapped_radix_sort_block_sort_configINS0_13kernel_configILj256ELj4ELj4294967295EEEtN2at4cuda3cub6detail10OpaqueTypeILi8EEEEELb1EPKtPtPKSB_PSB_NS0_19identity_decomposerEEEvT1_T2_T3_T4_jT5_jj,"axG",@progbits,_ZN7rocprim17ROCPRIM_304000_NS6detail28radix_sort_block_sort_kernelINS1_36wrapped_radix_sort_block_sort_configINS0_13kernel_configILj256ELj4ELj4294967295EEEtN2at4cuda3cub6detail10OpaqueTypeILi8EEEEELb1EPKtPtPKSB_PSB_NS0_19identity_decomposerEEEvT1_T2_T3_T4_jT5_jj,comdat
.Lfunc_end0:
	.size	_ZN7rocprim17ROCPRIM_304000_NS6detail28radix_sort_block_sort_kernelINS1_36wrapped_radix_sort_block_sort_configINS0_13kernel_configILj256ELj4ELj4294967295EEEtN2at4cuda3cub6detail10OpaqueTypeILi8EEEEELb1EPKtPtPKSB_PSB_NS0_19identity_decomposerEEEvT1_T2_T3_T4_jT5_jj, .Lfunc_end0-_ZN7rocprim17ROCPRIM_304000_NS6detail28radix_sort_block_sort_kernelINS1_36wrapped_radix_sort_block_sort_configINS0_13kernel_configILj256ELj4ELj4294967295EEEtN2at4cuda3cub6detail10OpaqueTypeILi8EEEEELb1EPKtPtPKSB_PSB_NS0_19identity_decomposerEEEvT1_T2_T3_T4_jT5_jj
                                        ; -- End function
	.section	.AMDGPU.csdata,"",@progbits
; Kernel info:
; codeLenInByte = 4000
; NumSgprs: 52
; NumVgprs: 52
; NumAgprs: 0
; TotalNumVgprs: 52
; ScratchSize: 0
; MemoryBound: 0
; FloatMode: 240
; IeeeMode: 1
; LDSByteSize: 8192 bytes/workgroup (compile time only)
; SGPRBlocks: 6
; VGPRBlocks: 6
; NumSGPRsForWavesPerEU: 52
; NumVGPRsForWavesPerEU: 52
; AccumOffset: 52
; Occupancy: 8
; WaveLimiterHint : 1
; COMPUTE_PGM_RSRC2:SCRATCH_EN: 0
; COMPUTE_PGM_RSRC2:USER_SGPR: 6
; COMPUTE_PGM_RSRC2:TRAP_HANDLER: 0
; COMPUTE_PGM_RSRC2:TGID_X_EN: 1
; COMPUTE_PGM_RSRC2:TGID_Y_EN: 0
; COMPUTE_PGM_RSRC2:TGID_Z_EN: 0
; COMPUTE_PGM_RSRC2:TIDIG_COMP_CNT: 2
; COMPUTE_PGM_RSRC3_GFX90A:ACCUM_OFFSET: 12
; COMPUTE_PGM_RSRC3_GFX90A:TG_SPLIT: 0
	.section	.text._ZN7rocprim17ROCPRIM_304000_NS6detail39device_merge_sort_compile_time_verifierINS1_36wrapped_merge_sort_block_sort_configINS1_28merge_sort_block_sort_configILj256ELj4ELNS0_20block_sort_algorithmE0EEEtN2at4cuda3cub6detail10OpaqueTypeILi8EEEEENS1_37wrapped_merge_sort_block_merge_configINS0_14default_configEtSC_EEEEvv,"axG",@progbits,_ZN7rocprim17ROCPRIM_304000_NS6detail39device_merge_sort_compile_time_verifierINS1_36wrapped_merge_sort_block_sort_configINS1_28merge_sort_block_sort_configILj256ELj4ELNS0_20block_sort_algorithmE0EEEtN2at4cuda3cub6detail10OpaqueTypeILi8EEEEENS1_37wrapped_merge_sort_block_merge_configINS0_14default_configEtSC_EEEEvv,comdat
	.protected	_ZN7rocprim17ROCPRIM_304000_NS6detail39device_merge_sort_compile_time_verifierINS1_36wrapped_merge_sort_block_sort_configINS1_28merge_sort_block_sort_configILj256ELj4ELNS0_20block_sort_algorithmE0EEEtN2at4cuda3cub6detail10OpaqueTypeILi8EEEEENS1_37wrapped_merge_sort_block_merge_configINS0_14default_configEtSC_EEEEvv ; -- Begin function _ZN7rocprim17ROCPRIM_304000_NS6detail39device_merge_sort_compile_time_verifierINS1_36wrapped_merge_sort_block_sort_configINS1_28merge_sort_block_sort_configILj256ELj4ELNS0_20block_sort_algorithmE0EEEtN2at4cuda3cub6detail10OpaqueTypeILi8EEEEENS1_37wrapped_merge_sort_block_merge_configINS0_14default_configEtSC_EEEEvv
	.globl	_ZN7rocprim17ROCPRIM_304000_NS6detail39device_merge_sort_compile_time_verifierINS1_36wrapped_merge_sort_block_sort_configINS1_28merge_sort_block_sort_configILj256ELj4ELNS0_20block_sort_algorithmE0EEEtN2at4cuda3cub6detail10OpaqueTypeILi8EEEEENS1_37wrapped_merge_sort_block_merge_configINS0_14default_configEtSC_EEEEvv
	.p2align	8
	.type	_ZN7rocprim17ROCPRIM_304000_NS6detail39device_merge_sort_compile_time_verifierINS1_36wrapped_merge_sort_block_sort_configINS1_28merge_sort_block_sort_configILj256ELj4ELNS0_20block_sort_algorithmE0EEEtN2at4cuda3cub6detail10OpaqueTypeILi8EEEEENS1_37wrapped_merge_sort_block_merge_configINS0_14default_configEtSC_EEEEvv,@function
_ZN7rocprim17ROCPRIM_304000_NS6detail39device_merge_sort_compile_time_verifierINS1_36wrapped_merge_sort_block_sort_configINS1_28merge_sort_block_sort_configILj256ELj4ELNS0_20block_sort_algorithmE0EEEtN2at4cuda3cub6detail10OpaqueTypeILi8EEEEENS1_37wrapped_merge_sort_block_merge_configINS0_14default_configEtSC_EEEEvv: ; @_ZN7rocprim17ROCPRIM_304000_NS6detail39device_merge_sort_compile_time_verifierINS1_36wrapped_merge_sort_block_sort_configINS1_28merge_sort_block_sort_configILj256ELj4ELNS0_20block_sort_algorithmE0EEEtN2at4cuda3cub6detail10OpaqueTypeILi8EEEEENS1_37wrapped_merge_sort_block_merge_configINS0_14default_configEtSC_EEEEvv
; %bb.0:
	s_endpgm
	.section	.rodata,"a",@progbits
	.p2align	6, 0x0
	.amdhsa_kernel _ZN7rocprim17ROCPRIM_304000_NS6detail39device_merge_sort_compile_time_verifierINS1_36wrapped_merge_sort_block_sort_configINS1_28merge_sort_block_sort_configILj256ELj4ELNS0_20block_sort_algorithmE0EEEtN2at4cuda3cub6detail10OpaqueTypeILi8EEEEENS1_37wrapped_merge_sort_block_merge_configINS0_14default_configEtSC_EEEEvv
		.amdhsa_group_segment_fixed_size 0
		.amdhsa_private_segment_fixed_size 0
		.amdhsa_kernarg_size 0
		.amdhsa_user_sgpr_count 4
		.amdhsa_user_sgpr_private_segment_buffer 1
		.amdhsa_user_sgpr_dispatch_ptr 0
		.amdhsa_user_sgpr_queue_ptr 0
		.amdhsa_user_sgpr_kernarg_segment_ptr 0
		.amdhsa_user_sgpr_dispatch_id 0
		.amdhsa_user_sgpr_flat_scratch_init 0
		.amdhsa_user_sgpr_kernarg_preload_length 0
		.amdhsa_user_sgpr_kernarg_preload_offset 0
		.amdhsa_user_sgpr_private_segment_size 0
		.amdhsa_uses_dynamic_stack 0
		.amdhsa_system_sgpr_private_segment_wavefront_offset 0
		.amdhsa_system_sgpr_workgroup_id_x 1
		.amdhsa_system_sgpr_workgroup_id_y 0
		.amdhsa_system_sgpr_workgroup_id_z 0
		.amdhsa_system_sgpr_workgroup_info 0
		.amdhsa_system_vgpr_workitem_id 0
		.amdhsa_next_free_vgpr 1
		.amdhsa_next_free_sgpr 0
		.amdhsa_accum_offset 4
		.amdhsa_reserve_vcc 0
		.amdhsa_reserve_flat_scratch 0
		.amdhsa_float_round_mode_32 0
		.amdhsa_float_round_mode_16_64 0
		.amdhsa_float_denorm_mode_32 3
		.amdhsa_float_denorm_mode_16_64 3
		.amdhsa_dx10_clamp 1
		.amdhsa_ieee_mode 1
		.amdhsa_fp16_overflow 0
		.amdhsa_tg_split 0
		.amdhsa_exception_fp_ieee_invalid_op 0
		.amdhsa_exception_fp_denorm_src 0
		.amdhsa_exception_fp_ieee_div_zero 0
		.amdhsa_exception_fp_ieee_overflow 0
		.amdhsa_exception_fp_ieee_underflow 0
		.amdhsa_exception_fp_ieee_inexact 0
		.amdhsa_exception_int_div_zero 0
	.end_amdhsa_kernel
	.section	.text._ZN7rocprim17ROCPRIM_304000_NS6detail39device_merge_sort_compile_time_verifierINS1_36wrapped_merge_sort_block_sort_configINS1_28merge_sort_block_sort_configILj256ELj4ELNS0_20block_sort_algorithmE0EEEtN2at4cuda3cub6detail10OpaqueTypeILi8EEEEENS1_37wrapped_merge_sort_block_merge_configINS0_14default_configEtSC_EEEEvv,"axG",@progbits,_ZN7rocprim17ROCPRIM_304000_NS6detail39device_merge_sort_compile_time_verifierINS1_36wrapped_merge_sort_block_sort_configINS1_28merge_sort_block_sort_configILj256ELj4ELNS0_20block_sort_algorithmE0EEEtN2at4cuda3cub6detail10OpaqueTypeILi8EEEEENS1_37wrapped_merge_sort_block_merge_configINS0_14default_configEtSC_EEEEvv,comdat
.Lfunc_end1:
	.size	_ZN7rocprim17ROCPRIM_304000_NS6detail39device_merge_sort_compile_time_verifierINS1_36wrapped_merge_sort_block_sort_configINS1_28merge_sort_block_sort_configILj256ELj4ELNS0_20block_sort_algorithmE0EEEtN2at4cuda3cub6detail10OpaqueTypeILi8EEEEENS1_37wrapped_merge_sort_block_merge_configINS0_14default_configEtSC_EEEEvv, .Lfunc_end1-_ZN7rocprim17ROCPRIM_304000_NS6detail39device_merge_sort_compile_time_verifierINS1_36wrapped_merge_sort_block_sort_configINS1_28merge_sort_block_sort_configILj256ELj4ELNS0_20block_sort_algorithmE0EEEtN2at4cuda3cub6detail10OpaqueTypeILi8EEEEENS1_37wrapped_merge_sort_block_merge_configINS0_14default_configEtSC_EEEEvv
                                        ; -- End function
	.section	.AMDGPU.csdata,"",@progbits
; Kernel info:
; codeLenInByte = 4
; NumSgprs: 4
; NumVgprs: 0
; NumAgprs: 0
; TotalNumVgprs: 0
; ScratchSize: 0
; MemoryBound: 0
; FloatMode: 240
; IeeeMode: 1
; LDSByteSize: 0 bytes/workgroup (compile time only)
; SGPRBlocks: 0
; VGPRBlocks: 0
; NumSGPRsForWavesPerEU: 4
; NumVGPRsForWavesPerEU: 1
; AccumOffset: 4
; Occupancy: 8
; WaveLimiterHint : 0
; COMPUTE_PGM_RSRC2:SCRATCH_EN: 0
; COMPUTE_PGM_RSRC2:USER_SGPR: 4
; COMPUTE_PGM_RSRC2:TRAP_HANDLER: 0
; COMPUTE_PGM_RSRC2:TGID_X_EN: 1
; COMPUTE_PGM_RSRC2:TGID_Y_EN: 0
; COMPUTE_PGM_RSRC2:TGID_Z_EN: 0
; COMPUTE_PGM_RSRC2:TIDIG_COMP_CNT: 0
; COMPUTE_PGM_RSRC3_GFX90A:ACCUM_OFFSET: 0
; COMPUTE_PGM_RSRC3_GFX90A:TG_SPLIT: 0
	.section	.text._ZN7rocprim17ROCPRIM_304000_NS6detail45device_block_merge_mergepath_partition_kernelINS1_37wrapped_merge_sort_block_merge_configINS0_14default_configEtN2at4cuda3cub6detail10OpaqueTypeILi8EEEEEPtjNS1_19radix_merge_compareILb1ELb0EtNS0_19identity_decomposerEEEEEvT0_T1_jPSH_T2_SH_,"axG",@progbits,_ZN7rocprim17ROCPRIM_304000_NS6detail45device_block_merge_mergepath_partition_kernelINS1_37wrapped_merge_sort_block_merge_configINS0_14default_configEtN2at4cuda3cub6detail10OpaqueTypeILi8EEEEEPtjNS1_19radix_merge_compareILb1ELb0EtNS0_19identity_decomposerEEEEEvT0_T1_jPSH_T2_SH_,comdat
	.protected	_ZN7rocprim17ROCPRIM_304000_NS6detail45device_block_merge_mergepath_partition_kernelINS1_37wrapped_merge_sort_block_merge_configINS0_14default_configEtN2at4cuda3cub6detail10OpaqueTypeILi8EEEEEPtjNS1_19radix_merge_compareILb1ELb0EtNS0_19identity_decomposerEEEEEvT0_T1_jPSH_T2_SH_ ; -- Begin function _ZN7rocprim17ROCPRIM_304000_NS6detail45device_block_merge_mergepath_partition_kernelINS1_37wrapped_merge_sort_block_merge_configINS0_14default_configEtN2at4cuda3cub6detail10OpaqueTypeILi8EEEEEPtjNS1_19radix_merge_compareILb1ELb0EtNS0_19identity_decomposerEEEEEvT0_T1_jPSH_T2_SH_
	.globl	_ZN7rocprim17ROCPRIM_304000_NS6detail45device_block_merge_mergepath_partition_kernelINS1_37wrapped_merge_sort_block_merge_configINS0_14default_configEtN2at4cuda3cub6detail10OpaqueTypeILi8EEEEEPtjNS1_19radix_merge_compareILb1ELb0EtNS0_19identity_decomposerEEEEEvT0_T1_jPSH_T2_SH_
	.p2align	8
	.type	_ZN7rocprim17ROCPRIM_304000_NS6detail45device_block_merge_mergepath_partition_kernelINS1_37wrapped_merge_sort_block_merge_configINS0_14default_configEtN2at4cuda3cub6detail10OpaqueTypeILi8EEEEEPtjNS1_19radix_merge_compareILb1ELb0EtNS0_19identity_decomposerEEEEEvT0_T1_jPSH_T2_SH_,@function
_ZN7rocprim17ROCPRIM_304000_NS6detail45device_block_merge_mergepath_partition_kernelINS1_37wrapped_merge_sort_block_merge_configINS0_14default_configEtN2at4cuda3cub6detail10OpaqueTypeILi8EEEEEPtjNS1_19radix_merge_compareILb1ELb0EtNS0_19identity_decomposerEEEEEvT0_T1_jPSH_T2_SH_: ; @_ZN7rocprim17ROCPRIM_304000_NS6detail45device_block_merge_mergepath_partition_kernelINS1_37wrapped_merge_sort_block_merge_configINS0_14default_configEtN2at4cuda3cub6detail10OpaqueTypeILi8EEEEEPtjNS1_19radix_merge_compareILb1ELb0EtNS0_19identity_decomposerEEEEEvT0_T1_jPSH_T2_SH_
; %bb.0:
	s_load_dwordx2 s[0:1], s[4:5], 0x8
	v_lshl_or_b32 v0, s6, 7, v0
	s_waitcnt lgkmcnt(0)
	v_cmp_gt_u32_e32 vcc, s1, v0
	s_and_saveexec_b64 s[2:3], vcc
	s_cbranch_execz .LBB2_6
; %bb.1:
	s_load_dword s1, s[4:5], 0x1c
	s_waitcnt lgkmcnt(0)
	s_lshr_b32 s2, s1, 9
	s_and_b32 s2, s2, 0x7ffffe
	s_add_i32 s3, s2, -1
	s_sub_i32 s2, 0, s2
	v_and_b32_e32 v1, s2, v0
	v_and_b32_e32 v2, s3, v0
	v_lshlrev_b32_e32 v1, 10, v1
	v_lshlrev_b32_e32 v3, 10, v2
	v_min_u32_e32 v2, s0, v1
	v_add_u32_e32 v1, s1, v1
	v_min_u32_e32 v4, s0, v1
	v_add_u32_e32 v1, s1, v4
	v_min_u32_e32 v1, s0, v1
	v_sub_u32_e32 v5, v1, v2
	v_min_u32_e32 v6, v5, v3
	v_sub_u32_e32 v3, v4, v2
	v_sub_u32_e32 v1, v1, v4
	v_sub_u32_e64 v1, v6, v1 clamp
	v_min_u32_e32 v7, v6, v3
	v_cmp_lt_u32_e32 vcc, v1, v7
	s_and_saveexec_b64 s[0:1], vcc
	s_cbranch_execz .LBB2_5
; %bb.2:
	s_load_dwordx2 s[2:3], s[4:5], 0x0
	v_mov_b32_e32 v5, 0
	v_mov_b32_e32 v3, v5
	v_lshlrev_b64 v[8:9], 1, v[2:3]
	v_lshlrev_b64 v[10:11], 1, v[4:5]
	s_waitcnt lgkmcnt(0)
	v_mov_b32_e32 v12, s3
	v_add_co_u32_e32 v3, vcc, s2, v8
	v_addc_co_u32_e32 v8, vcc, v12, v9, vcc
	v_add_co_u32_e32 v9, vcc, s2, v10
	v_addc_co_u32_e32 v10, vcc, v12, v11, vcc
	s_mov_b64 s[2:3], 0
.LBB2_3:                                ; =>This Inner Loop Header: Depth=1
	v_add_u32_e32 v4, v7, v1
	v_and_b32_e32 v12, -2, v4
	v_lshrrev_b32_e32 v11, 1, v4
	v_add_co_u32_e32 v12, vcc, v3, v12
	v_xad_u32 v4, v11, -1, v6
	v_addc_co_u32_e32 v13, vcc, 0, v8, vcc
	global_load_ushort v14, v[12:13], off
	v_lshlrev_b64 v[12:13], 1, v[4:5]
	v_add_co_u32_e32 v12, vcc, v9, v12
	v_addc_co_u32_e32 v13, vcc, v10, v13, vcc
	global_load_ushort v4, v[12:13], off
	v_add_u32_e32 v12, 1, v11
	s_waitcnt vmcnt(0)
	v_cmp_gt_u16_e32 vcc, v4, v14
	v_cndmask_b32_e32 v7, v7, v11, vcc
	v_cndmask_b32_e32 v1, v12, v1, vcc
	v_cmp_ge_u32_e32 vcc, v1, v7
	s_or_b64 s[2:3], vcc, s[2:3]
	s_andn2_b64 exec, exec, s[2:3]
	s_cbranch_execnz .LBB2_3
; %bb.4:
	s_or_b64 exec, exec, s[2:3]
.LBB2_5:
	s_or_b64 exec, exec, s[0:1]
	s_load_dwordx2 s[0:1], s[4:5], 0x10
	v_add_u32_e32 v2, v1, v2
	v_mov_b32_e32 v1, 0
	v_lshlrev_b64 v[0:1], 2, v[0:1]
	s_waitcnt lgkmcnt(0)
	v_mov_b32_e32 v3, s1
	v_add_co_u32_e32 v0, vcc, s0, v0
	v_addc_co_u32_e32 v1, vcc, v3, v1, vcc
	global_store_dword v[0:1], v2, off
.LBB2_6:
	s_endpgm
	.section	.rodata,"a",@progbits
	.p2align	6, 0x0
	.amdhsa_kernel _ZN7rocprim17ROCPRIM_304000_NS6detail45device_block_merge_mergepath_partition_kernelINS1_37wrapped_merge_sort_block_merge_configINS0_14default_configEtN2at4cuda3cub6detail10OpaqueTypeILi8EEEEEPtjNS1_19radix_merge_compareILb1ELb0EtNS0_19identity_decomposerEEEEEvT0_T1_jPSH_T2_SH_
		.amdhsa_group_segment_fixed_size 0
		.amdhsa_private_segment_fixed_size 0
		.amdhsa_kernarg_size 32
		.amdhsa_user_sgpr_count 6
		.amdhsa_user_sgpr_private_segment_buffer 1
		.amdhsa_user_sgpr_dispatch_ptr 0
		.amdhsa_user_sgpr_queue_ptr 0
		.amdhsa_user_sgpr_kernarg_segment_ptr 1
		.amdhsa_user_sgpr_dispatch_id 0
		.amdhsa_user_sgpr_flat_scratch_init 0
		.amdhsa_user_sgpr_kernarg_preload_length 0
		.amdhsa_user_sgpr_kernarg_preload_offset 0
		.amdhsa_user_sgpr_private_segment_size 0
		.amdhsa_uses_dynamic_stack 0
		.amdhsa_system_sgpr_private_segment_wavefront_offset 0
		.amdhsa_system_sgpr_workgroup_id_x 1
		.amdhsa_system_sgpr_workgroup_id_y 0
		.amdhsa_system_sgpr_workgroup_id_z 0
		.amdhsa_system_sgpr_workgroup_info 0
		.amdhsa_system_vgpr_workitem_id 0
		.amdhsa_next_free_vgpr 15
		.amdhsa_next_free_sgpr 7
		.amdhsa_accum_offset 16
		.amdhsa_reserve_vcc 1
		.amdhsa_reserve_flat_scratch 0
		.amdhsa_float_round_mode_32 0
		.amdhsa_float_round_mode_16_64 0
		.amdhsa_float_denorm_mode_32 3
		.amdhsa_float_denorm_mode_16_64 3
		.amdhsa_dx10_clamp 1
		.amdhsa_ieee_mode 1
		.amdhsa_fp16_overflow 0
		.amdhsa_tg_split 0
		.amdhsa_exception_fp_ieee_invalid_op 0
		.amdhsa_exception_fp_denorm_src 0
		.amdhsa_exception_fp_ieee_div_zero 0
		.amdhsa_exception_fp_ieee_overflow 0
		.amdhsa_exception_fp_ieee_underflow 0
		.amdhsa_exception_fp_ieee_inexact 0
		.amdhsa_exception_int_div_zero 0
	.end_amdhsa_kernel
	.section	.text._ZN7rocprim17ROCPRIM_304000_NS6detail45device_block_merge_mergepath_partition_kernelINS1_37wrapped_merge_sort_block_merge_configINS0_14default_configEtN2at4cuda3cub6detail10OpaqueTypeILi8EEEEEPtjNS1_19radix_merge_compareILb1ELb0EtNS0_19identity_decomposerEEEEEvT0_T1_jPSH_T2_SH_,"axG",@progbits,_ZN7rocprim17ROCPRIM_304000_NS6detail45device_block_merge_mergepath_partition_kernelINS1_37wrapped_merge_sort_block_merge_configINS0_14default_configEtN2at4cuda3cub6detail10OpaqueTypeILi8EEEEEPtjNS1_19radix_merge_compareILb1ELb0EtNS0_19identity_decomposerEEEEEvT0_T1_jPSH_T2_SH_,comdat
.Lfunc_end2:
	.size	_ZN7rocprim17ROCPRIM_304000_NS6detail45device_block_merge_mergepath_partition_kernelINS1_37wrapped_merge_sort_block_merge_configINS0_14default_configEtN2at4cuda3cub6detail10OpaqueTypeILi8EEEEEPtjNS1_19radix_merge_compareILb1ELb0EtNS0_19identity_decomposerEEEEEvT0_T1_jPSH_T2_SH_, .Lfunc_end2-_ZN7rocprim17ROCPRIM_304000_NS6detail45device_block_merge_mergepath_partition_kernelINS1_37wrapped_merge_sort_block_merge_configINS0_14default_configEtN2at4cuda3cub6detail10OpaqueTypeILi8EEEEEPtjNS1_19radix_merge_compareILb1ELb0EtNS0_19identity_decomposerEEEEEvT0_T1_jPSH_T2_SH_
                                        ; -- End function
	.section	.AMDGPU.csdata,"",@progbits
; Kernel info:
; codeLenInByte = 356
; NumSgprs: 11
; NumVgprs: 15
; NumAgprs: 0
; TotalNumVgprs: 15
; ScratchSize: 0
; MemoryBound: 0
; FloatMode: 240
; IeeeMode: 1
; LDSByteSize: 0 bytes/workgroup (compile time only)
; SGPRBlocks: 1
; VGPRBlocks: 1
; NumSGPRsForWavesPerEU: 11
; NumVGPRsForWavesPerEU: 15
; AccumOffset: 16
; Occupancy: 8
; WaveLimiterHint : 0
; COMPUTE_PGM_RSRC2:SCRATCH_EN: 0
; COMPUTE_PGM_RSRC2:USER_SGPR: 6
; COMPUTE_PGM_RSRC2:TRAP_HANDLER: 0
; COMPUTE_PGM_RSRC2:TGID_X_EN: 1
; COMPUTE_PGM_RSRC2:TGID_Y_EN: 0
; COMPUTE_PGM_RSRC2:TGID_Z_EN: 0
; COMPUTE_PGM_RSRC2:TIDIG_COMP_CNT: 0
; COMPUTE_PGM_RSRC3_GFX90A:ACCUM_OFFSET: 3
; COMPUTE_PGM_RSRC3_GFX90A:TG_SPLIT: 0
	.section	.text._ZN7rocprim17ROCPRIM_304000_NS6detail35device_block_merge_mergepath_kernelINS1_37wrapped_merge_sort_block_merge_configINS0_14default_configEtN2at4cuda3cub6detail10OpaqueTypeILi8EEEEEPtSC_PSA_SD_jNS1_19radix_merge_compareILb1ELb0EtNS0_19identity_decomposerEEEEEvT0_T1_T2_T3_T4_SL_jT5_PKSL_NS1_7vsmem_tE,"axG",@progbits,_ZN7rocprim17ROCPRIM_304000_NS6detail35device_block_merge_mergepath_kernelINS1_37wrapped_merge_sort_block_merge_configINS0_14default_configEtN2at4cuda3cub6detail10OpaqueTypeILi8EEEEEPtSC_PSA_SD_jNS1_19radix_merge_compareILb1ELb0EtNS0_19identity_decomposerEEEEEvT0_T1_T2_T3_T4_SL_jT5_PKSL_NS1_7vsmem_tE,comdat
	.protected	_ZN7rocprim17ROCPRIM_304000_NS6detail35device_block_merge_mergepath_kernelINS1_37wrapped_merge_sort_block_merge_configINS0_14default_configEtN2at4cuda3cub6detail10OpaqueTypeILi8EEEEEPtSC_PSA_SD_jNS1_19radix_merge_compareILb1ELb0EtNS0_19identity_decomposerEEEEEvT0_T1_T2_T3_T4_SL_jT5_PKSL_NS1_7vsmem_tE ; -- Begin function _ZN7rocprim17ROCPRIM_304000_NS6detail35device_block_merge_mergepath_kernelINS1_37wrapped_merge_sort_block_merge_configINS0_14default_configEtN2at4cuda3cub6detail10OpaqueTypeILi8EEEEEPtSC_PSA_SD_jNS1_19radix_merge_compareILb1ELb0EtNS0_19identity_decomposerEEEEEvT0_T1_T2_T3_T4_SL_jT5_PKSL_NS1_7vsmem_tE
	.globl	_ZN7rocprim17ROCPRIM_304000_NS6detail35device_block_merge_mergepath_kernelINS1_37wrapped_merge_sort_block_merge_configINS0_14default_configEtN2at4cuda3cub6detail10OpaqueTypeILi8EEEEEPtSC_PSA_SD_jNS1_19radix_merge_compareILb1ELb0EtNS0_19identity_decomposerEEEEEvT0_T1_T2_T3_T4_SL_jT5_PKSL_NS1_7vsmem_tE
	.p2align	8
	.type	_ZN7rocprim17ROCPRIM_304000_NS6detail35device_block_merge_mergepath_kernelINS1_37wrapped_merge_sort_block_merge_configINS0_14default_configEtN2at4cuda3cub6detail10OpaqueTypeILi8EEEEEPtSC_PSA_SD_jNS1_19radix_merge_compareILb1ELb0EtNS0_19identity_decomposerEEEEEvT0_T1_T2_T3_T4_SL_jT5_PKSL_NS1_7vsmem_tE,@function
_ZN7rocprim17ROCPRIM_304000_NS6detail35device_block_merge_mergepath_kernelINS1_37wrapped_merge_sort_block_merge_configINS0_14default_configEtN2at4cuda3cub6detail10OpaqueTypeILi8EEEEEPtSC_PSA_SD_jNS1_19radix_merge_compareILb1ELb0EtNS0_19identity_decomposerEEEEEvT0_T1_T2_T3_T4_SL_jT5_PKSL_NS1_7vsmem_tE: ; @_ZN7rocprim17ROCPRIM_304000_NS6detail35device_block_merge_mergepath_kernelINS1_37wrapped_merge_sort_block_merge_configINS0_14default_configEtN2at4cuda3cub6detail10OpaqueTypeILi8EEEEEPtSC_PSA_SD_jNS1_19radix_merge_compareILb1ELb0EtNS0_19identity_decomposerEEEEEvT0_T1_T2_T3_T4_SL_jT5_PKSL_NS1_7vsmem_tE
; %bb.0:
	s_load_dwordx2 s[26:27], s[4:5], 0x40
	s_load_dwordx4 s[16:19], s[4:5], 0x20
	s_add_u32 s2, s4, 64
	s_addc_u32 s3, s5, 0
	s_waitcnt lgkmcnt(0)
	s_mul_i32 s0, s27, s8
	s_add_i32 s0, s0, s7
	s_mul_i32 s0, s0, s26
	s_add_i32 s0, s0, s6
	s_cmp_ge_u32 s0, s18
	s_cbranch_scc1 .LBB3_69
; %bb.1:
	s_load_dwordx8 s[8:15], s[4:5], 0x0
	s_load_dwordx2 s[18:19], s[4:5], 0x30
	s_lshr_b32 s29, s16, 10
	s_cmp_lg_u32 s0, s29
	s_mov_b32 s1, 0
	s_cselect_b64 s[20:21], -1, 0
	s_lshl_b64 s[4:5], s[0:1], 2
	s_waitcnt lgkmcnt(0)
	s_add_u32 s4, s18, s4
	s_addc_u32 s5, s19, s5
	s_load_dwordx2 s[22:23], s[4:5], 0x0
	s_lshr_b32 s4, s17, 9
	s_and_b32 s4, s4, 0x7ffffe
	s_sub_i32 s4, 0, s4
	s_and_b32 s5, s0, s4
	s_lshl_b32 s7, s5, 10
	s_lshl_b32 s18, s0, 10
	;; [unrolled: 1-line block ×3, first 2 shown]
	s_sub_i32 s19, s18, s7
	s_add_i32 s5, s5, s17
	s_add_i32 s19, s5, s19
	s_waitcnt lgkmcnt(0)
	s_sub_i32 s24, s19, s22
	s_sub_i32 s19, s19, s23
	;; [unrolled: 1-line block ×3, first 2 shown]
	s_min_u32 s24, s16, s24
	s_addk_i32 s19, 0x400
	s_or_b32 s4, s0, s4
	s_min_u32 s7, s16, s5
	s_add_i32 s5, s5, s17
	s_cmp_eq_u32 s4, -1
	s_cselect_b32 s4, s5, s19
	s_cselect_b32 s5, s7, s23
	s_min_u32 s4, s4, s16
	s_mov_b32 s23, s1
	s_sub_i32 s19, s5, s22
	s_sub_i32 s27, s4, s24
	s_lshl_b64 s[4:5], s[22:23], 1
	s_add_u32 s7, s8, s4
	s_mov_b32 s25, s1
	s_addc_u32 s28, s9, s5
	s_lshl_b64 s[4:5], s[24:25], 1
	s_add_u32 s4, s8, s4
	s_addc_u32 s5, s9, s5
	s_cmp_lt_u32 s6, s26
	v_mov_b32_e32 v3, 0
	s_cselect_b32 s1, 12, 18
	global_load_dword v1, v3, s[2:3] offset:14
	s_add_u32 s2, s2, s1
	s_addc_u32 s3, s3, 0
	global_load_ushort v2, v3, s[2:3]
	v_cmp_gt_u32_e32 vcc, s19, v0
	s_cmp_eq_u32 s0, s29
	s_waitcnt vmcnt(1)
	v_lshrrev_b32_e32 v4, 16, v1
	v_and_b32_e32 v1, 0xffff, v1
	v_mul_lo_u32 v1, v1, v4
	s_waitcnt vmcnt(0)
	v_mul_lo_u32 v8, v1, v2
	v_add_u32_e32 v6, v8, v0
	v_lshlrev_b32_e32 v1, 1, v0
	v_add_u32_e32 v4, v6, v8
	s_cbranch_scc1 .LBB3_3
; %bb.2:
	v_mov_b32_e32 v2, s28
	v_add_co_u32_e64 v5, s[0:1], s7, v1
	v_addc_co_u32_e64 v7, s[0:1], 0, v2, s[0:1]
	v_subrev_u32_e32 v2, s19, v0
	v_lshlrev_b64 v[10:11], 1, v[2:3]
	v_mov_b32_e32 v2, s5
	v_add_co_u32_e64 v9, s[0:1], s4, v10
	v_addc_co_u32_e64 v2, s[0:1], v2, v11, s[0:1]
	v_cndmask_b32_e32 v11, v2, v7, vcc
	v_cndmask_b32_e32 v10, v9, v5, vcc
	v_mov_b32_e32 v7, v3
	global_load_ushort v9, v[10:11], off
	v_lshlrev_b64 v[10:11], 1, v[6:7]
	v_mov_b32_e32 v2, s28
	v_add_co_u32_e32 v5, vcc, s7, v10
	v_addc_co_u32_e32 v7, vcc, v2, v11, vcc
	v_subrev_u32_e32 v2, s19, v6
	v_lshlrev_b64 v[10:11], 1, v[2:3]
	v_mov_b32_e32 v2, s5
	v_add_co_u32_e32 v10, vcc, s4, v10
	v_addc_co_u32_e32 v2, vcc, v2, v11, vcc
	v_cmp_gt_u32_e32 vcc, s19, v6
	v_cndmask_b32_e32 v11, v2, v7, vcc
	v_cndmask_b32_e32 v10, v10, v5, vcc
	v_mov_b32_e32 v5, v3
	global_load_ushort v7, v[10:11], off
	v_lshlrev_b64 v[10:11], 1, v[4:5]
	v_mov_b32_e32 v2, s28
	v_add_co_u32_e32 v5, vcc, s7, v10
	v_addc_co_u32_e32 v12, vcc, v2, v11, vcc
	v_subrev_u32_e32 v2, s19, v4
	v_lshlrev_b64 v[10:11], 1, v[2:3]
	v_mov_b32_e32 v2, s5
	v_add_co_u32_e32 v10, vcc, s4, v10
	v_addc_co_u32_e32 v2, vcc, v2, v11, vcc
	v_cmp_gt_u32_e32 vcc, s19, v4
	v_cndmask_b32_e32 v11, v2, v12, vcc
	v_cndmask_b32_e32 v10, v10, v5, vcc
	v_add_u32_e32 v2, v4, v8
	global_load_ushort v5, v[10:11], off
	v_lshlrev_b64 v[10:11], 1, v[2:3]
	v_mov_b32_e32 v12, s28
	v_add_co_u32_e32 v10, vcc, s7, v10
	v_addc_co_u32_e32 v11, vcc, v12, v11, vcc
	v_cmp_gt_u32_e32 vcc, s19, v2
	v_subrev_u32_e32 v2, s19, v2
	v_lshlrev_b64 v[2:3], 1, v[2:3]
	v_mov_b32_e32 v12, s5
	v_add_co_u32_e64 v2, s[0:1], s4, v2
	v_addc_co_u32_e64 v3, s[0:1], v12, v3, s[0:1]
	v_cndmask_b32_e32 v3, v3, v11, vcc
	v_cndmask_b32_e32 v2, v2, v10, vcc
	global_load_ushort v3, v[2:3], off
	s_mov_b32 s0, 0x5040100
	s_add_i32 s17, s27, s19
	s_waitcnt vmcnt(2)
	v_perm_b32 v2, v7, v9, s0
	s_waitcnt vmcnt(0)
	v_perm_b32 v3, v3, v5, s0
	s_cbranch_execz .LBB3_4
	s_branch .LBB3_11
.LBB3_3:
                                        ; implicit-def: $vgpr2_vgpr3
                                        ; implicit-def: $sgpr17
.LBB3_4:
	s_add_i32 s17, s27, s19
	v_cmp_gt_u32_e32 vcc, s17, v0
                                        ; implicit-def: $vgpr2_vgpr3
	s_and_saveexec_b64 s[0:1], vcc
	s_cbranch_execnz .LBB3_70
; %bb.5:
	s_or_b64 exec, exec, s[0:1]
	v_cmp_gt_u32_e32 vcc, s17, v6
	s_and_saveexec_b64 s[2:3], vcc
	s_cbranch_execnz .LBB3_71
.LBB3_6:
	s_or_b64 exec, exec, s[2:3]
	v_cmp_gt_u32_e32 vcc, s17, v4
	s_and_saveexec_b64 s[0:1], vcc
	s_cbranch_execz .LBB3_8
.LBB3_7:
	v_mov_b32_e32 v5, 0
	v_lshlrev_b64 v[6:7], 1, v[4:5]
	v_mov_b32_e32 v9, s28
	v_add_co_u32_e32 v10, vcc, s7, v6
	v_addc_co_u32_e32 v9, vcc, v9, v7, vcc
	v_subrev_u32_e32 v6, s19, v4
	v_mov_b32_e32 v7, v5
	v_lshlrev_b64 v[6:7], 1, v[6:7]
	v_mov_b32_e32 v5, s5
	v_add_co_u32_e32 v6, vcc, s4, v6
	v_addc_co_u32_e32 v5, vcc, v5, v7, vcc
	v_cmp_gt_u32_e32 vcc, s19, v4
	v_cndmask_b32_e32 v7, v5, v9, vcc
	v_cndmask_b32_e32 v6, v6, v10, vcc
	global_load_ushort v5, v[6:7], off
	s_mov_b32 s2, 0xffff
	s_waitcnt vmcnt(0)
	v_bfi_b32 v3, s2, v5, v3
.LBB3_8:
	s_or_b64 exec, exec, s[0:1]
	v_add_u32_e32 v4, v4, v8
	v_cmp_gt_u32_e32 vcc, s17, v4
	s_and_saveexec_b64 s[2:3], vcc
	s_cbranch_execz .LBB3_10
; %bb.9:
	v_mov_b32_e32 v5, 0
	v_lshlrev_b64 v[6:7], 1, v[4:5]
	v_mov_b32_e32 v8, s28
	v_add_co_u32_e32 v6, vcc, s7, v6
	v_addc_co_u32_e32 v7, vcc, v8, v7, vcc
	v_cmp_gt_u32_e32 vcc, s19, v4
	v_subrev_u32_e32 v4, s19, v4
	v_lshlrev_b64 v[4:5], 1, v[4:5]
	v_mov_b32_e32 v8, s5
	v_add_co_u32_e64 v4, s[0:1], s4, v4
	v_addc_co_u32_e64 v5, s[0:1], v8, v5, s[0:1]
	v_cndmask_b32_e32 v5, v5, v7, vcc
	v_cndmask_b32_e32 v4, v4, v6, vcc
	global_load_ushort v4, v[4:5], off
	s_mov_b32 s0, 0x5040100
	s_waitcnt vmcnt(0)
	v_perm_b32 v3, v4, v3, s0
.LBB3_10:
	s_or_b64 exec, exec, s[2:3]
.LBB3_11:
	v_lshlrev_b32_e32 v8, 2, v0
	v_min_u32_e32 v5, s17, v8
	v_sub_u32_e64 v4, v5, s27 clamp
	v_min_u32_e32 v6, s19, v5
	v_cmp_lt_u32_e32 vcc, v4, v6
	s_waitcnt vmcnt(0)
	ds_write_b16 v1, v2
	ds_write_b16_d16_hi v1, v2 offset:512
	ds_write_b16 v1, v3 offset:1024
	ds_write_b16_d16_hi v1, v3 offset:1536
	s_waitcnt lgkmcnt(0)
	s_barrier
	s_and_saveexec_b64 s[0:1], vcc
	s_cbranch_execz .LBB3_15
; %bb.12:
	v_lshlrev_b32_e32 v7, 1, v5
	v_lshl_add_u32 v7, s19, 1, v7
	s_mov_b64 s[2:3], 0
.LBB3_13:                               ; =>This Inner Loop Header: Depth=1
	v_add_u32_e32 v9, v6, v4
	v_lshrrev_b32_e32 v10, 1, v9
	v_not_b32_e32 v11, v10
	v_and_b32_e32 v9, -2, v9
	v_lshl_add_u32 v11, v11, 1, v7
	ds_read_u16 v9, v9
	ds_read_u16 v11, v11
	v_add_u32_e32 v12, 1, v10
	s_waitcnt lgkmcnt(0)
	v_cmp_gt_u16_e32 vcc, v11, v9
	v_cndmask_b32_e32 v6, v6, v10, vcc
	v_cndmask_b32_e32 v4, v12, v4, vcc
	v_cmp_ge_u32_e32 vcc, v4, v6
	s_or_b64 s[2:3], vcc, s[2:3]
	s_andn2_b64 exec, exec, s[2:3]
	s_cbranch_execnz .LBB3_13
; %bb.14:
	s_or_b64 exec, exec, s[2:3]
.LBB3_15:
	s_or_b64 exec, exec, s[0:1]
	v_sub_u32_e32 v5, v5, v4
	v_add_u32_e32 v5, s19, v5
	v_cmp_ge_u32_e32 vcc, s19, v4
	v_cmp_ge_u32_e64 s[0:1], s17, v5
	s_or_b64 s[0:1], vcc, s[0:1]
                                        ; implicit-def: $vgpr9
                                        ; implicit-def: $vgpr10
                                        ; implicit-def: $vgpr11
                                        ; implicit-def: $vgpr12
	s_and_saveexec_b64 s[8:9], s[0:1]
	s_cbranch_execz .LBB3_21
; %bb.16:
	v_cmp_gt_u32_e32 vcc, s19, v4
                                        ; implicit-def: $vgpr2
	s_and_saveexec_b64 s[0:1], vcc
	s_cbranch_execz .LBB3_18
; %bb.17:
	v_lshlrev_b32_e32 v2, 1, v4
	ds_read_u16 v2, v2
.LBB3_18:
	s_or_b64 exec, exec, s[0:1]
	v_cmp_le_u32_e64 s[0:1], s17, v5
	v_cmp_gt_u32_e64 s[2:3], s17, v5
                                        ; implicit-def: $vgpr3
	s_and_saveexec_b64 s[4:5], s[2:3]
	s_cbranch_execz .LBB3_20
; %bb.19:
	v_lshlrev_b32_e32 v3, 1, v5
	ds_read_u16 v3, v3
.LBB3_20:
	s_or_b64 exec, exec, s[4:5]
	s_waitcnt lgkmcnt(0)
	v_cmp_le_u16_e64 s[2:3], v3, v2
	s_and_b64 s[2:3], vcc, s[2:3]
	s_or_b64 vcc, s[0:1], s[2:3]
	v_mov_b32_e32 v6, s17
	v_mov_b32_e32 v7, s19
	v_cndmask_b32_e32 v12, v5, v4, vcc
	v_cndmask_b32_e32 v9, v6, v7, vcc
	v_add_u32_e32 v10, 1, v12
	v_add_u32_e32 v9, -1, v9
	v_min_u32_e32 v9, v10, v9
	v_lshlrev_b32_e32 v9, 1, v9
	ds_read_u16 v9, v9
	v_cndmask_b32_e32 v4, v4, v10, vcc
	v_cndmask_b32_e32 v5, v10, v5, vcc
	v_cmp_gt_u32_e64 s[2:3], s19, v4
	v_cmp_le_u32_e64 s[0:1], s17, v5
	s_waitcnt lgkmcnt(0)
	v_cndmask_b32_e32 v13, v9, v3, vcc
	v_cndmask_b32_e32 v9, v2, v9, vcc
	v_cmp_le_u16_e64 s[4:5], v13, v9
	s_and_b64 s[2:3], s[2:3], s[4:5]
	s_or_b64 s[0:1], s[0:1], s[2:3]
	v_cndmask_b32_e64 v11, v5, v4, s[0:1]
	v_cndmask_b32_e64 v10, v6, v7, s[0:1]
	v_add_u32_e32 v14, 1, v11
	v_add_u32_e32 v10, -1, v10
	v_min_u32_e32 v10, v14, v10
	v_lshlrev_b32_e32 v10, 1, v10
	ds_read_u16 v10, v10
	v_cndmask_b32_e64 v4, v4, v14, s[0:1]
	v_cndmask_b32_e64 v5, v14, v5, s[0:1]
	v_cmp_gt_u32_e64 s[4:5], s19, v4
	v_cmp_le_u32_e64 s[2:3], s17, v5
	s_waitcnt lgkmcnt(0)
	v_cndmask_b32_e64 v15, v10, v13, s[0:1]
	v_cndmask_b32_e64 v16, v9, v10, s[0:1]
	v_cmp_le_u16_e64 s[6:7], v15, v16
	s_and_b64 s[4:5], s[4:5], s[6:7]
	s_or_b64 s[2:3], s[2:3], s[4:5]
	v_cndmask_b32_e64 v10, v5, v4, s[2:3]
	v_cndmask_b32_e64 v6, v6, v7, s[2:3]
	v_add_u32_e32 v7, 1, v10
	v_add_u32_e32 v6, -1, v6
	v_min_u32_e32 v6, v7, v6
	v_lshlrev_b32_e32 v6, 1, v6
	ds_read_u16 v6, v6
	v_cndmask_b32_e64 v4, v4, v7, s[2:3]
	v_cndmask_b32_e32 v2, v3, v2, vcc
	v_cndmask_b32_e64 v13, v13, v9, s[0:1]
	v_cndmask_b32_e64 v3, v15, v16, s[2:3]
	s_waitcnt lgkmcnt(0)
	v_cndmask_b32_e64 v14, v6, v15, s[2:3]
	v_cndmask_b32_e64 v6, v16, v6, s[2:3]
	;; [unrolled: 1-line block ×3, first 2 shown]
	v_cmp_gt_u32_e64 s[0:1], s19, v4
	v_cmp_le_u16_e64 s[2:3], v14, v6
	v_cmp_le_u32_e32 vcc, s17, v5
	s_and_b64 s[0:1], s[0:1], s[2:3]
	s_or_b64 vcc, vcc, s[0:1]
	v_cndmask_b32_e32 v9, v5, v4, vcc
	v_cndmask_b32_e32 v4, v14, v6, vcc
	s_mov_b32 s0, 0x5040100
	v_perm_b32 v3, v4, v3, s0
	v_perm_b32 v2, v13, v2, s0
.LBB3_21:
	s_or_b64 exec, exec, s[8:9]
	s_lshl_b64 s[0:1], s[22:23], 3
	s_add_u32 s26, s12, s0
	s_addc_u32 s28, s13, s1
	s_lshl_b64 s[0:1], s[24:25], 3
	s_add_u32 s29, s12, s0
	v_cndmask_b32_e64 v4, 0, 1, s[20:21]
	s_addc_u32 s30, s13, s1
	v_cmp_gt_u32_e64 s[4:5], s19, v0
	v_cmp_ne_u32_e64 s[0:1], 1, v4
	s_andn2_b64 vcc, exec, s[20:21]
	v_cmp_le_u32_e64 s[2:3], s19, v0
	s_barrier
	s_cbranch_vccnz .LBB3_23
; %bb.22:
	v_subrev_u32_e32 v4, s19, v0
	v_mov_b32_e32 v5, 0
	v_lshlrev_b64 v[6:7], 3, v[4:5]
	v_mov_b32_e32 v4, s30
	v_add_co_u32_e32 v6, vcc, s29, v6
	v_addc_co_u32_e32 v4, vcc, v4, v7, vcc
	v_lshlrev_b32_e32 v18, 3, v0
	v_mov_b32_e32 v7, s28
	v_add_co_u32_e32 v19, vcc, s26, v18
	v_addc_co_u32_e32 v20, vcc, 0, v7, vcc
	v_cndmask_b32_e64 v7, v4, v20, s[4:5]
	v_cndmask_b32_e64 v6, v6, v19, s[4:5]
	v_or_b32_e32 v13, 0x100, v0
	s_movk_i32 s4, 0x800
	v_add_co_u32_e32 v16, vcc, s4, v19
	v_subrev_u32_e32 v4, s19, v13
	v_addc_co_u32_e32 v17, vcc, 0, v20, vcc
	v_lshlrev_b64 v[14:15], 3, v[4:5]
	v_mov_b32_e32 v4, s30
	v_add_co_u32_e32 v14, vcc, s29, v14
	v_addc_co_u32_e32 v4, vcc, v4, v15, vcc
	v_cmp_gt_u32_e32 vcc, s19, v13
	v_or_b32_e32 v13, 0x200, v0
	s_movk_i32 s4, 0x1000
	v_cndmask_b32_e32 v15, v4, v17, vcc
	v_cndmask_b32_e32 v14, v14, v16, vcc
	v_add_co_u32_e32 v21, vcc, s4, v19
	v_subrev_u32_e32 v4, s19, v13
	v_addc_co_u32_e32 v22, vcc, 0, v20, vcc
	v_lshlrev_b64 v[16:17], 3, v[4:5]
	v_mov_b32_e32 v4, s30
	v_add_co_u32_e32 v16, vcc, s29, v16
	v_addc_co_u32_e32 v4, vcc, v4, v17, vcc
	v_cmp_gt_u32_e32 vcc, s19, v13
	global_load_dwordx2 v[6:7], v[6:7], off
	v_cndmask_b32_e32 v17, v4, v22, vcc
	global_load_dwordx2 v[14:15], v[14:15], off
	v_cndmask_b32_e32 v16, v16, v21, vcc
	global_load_dwordx2 v[16:17], v[16:17], off
	v_or_b32_e32 v21, 0x300, v0
	s_movk_i32 s4, 0x1800
	v_add_co_u32_e32 v19, vcc, s4, v19
	v_subrev_u32_e32 v4, s19, v21
	v_addc_co_u32_e32 v20, vcc, 0, v20, vcc
	v_lshlrev_b64 v[4:5], 3, v[4:5]
	v_mov_b32_e32 v22, s30
	v_add_co_u32_e32 v4, vcc, s29, v4
	v_addc_co_u32_e32 v5, vcc, v22, v5, vcc
	v_cmp_gt_u32_e32 vcc, s19, v21
	v_or_b32_e32 v13, 0x1800, v18
	v_cndmask_b32_e32 v5, v5, v20, vcc
	v_cndmask_b32_e32 v4, v4, v19, vcc
	s_mov_b64 s[4:5], -1
	s_waitcnt vmcnt(1)
	ds_write2st64_b64 v18, v[6:7], v[14:15] offset1:4
	s_waitcnt vmcnt(0)
	ds_write_b64 v18, v[16:17] offset:4096
	s_cbranch_execz .LBB3_24
	s_branch .LBB3_43
.LBB3_23:
	s_mov_b64 s[4:5], 0
                                        ; implicit-def: $vgpr13
                                        ; implicit-def: $vgpr4_vgpr5
.LBB3_24:
	s_mov_b64 s[6:7], 0
                                        ; implicit-def: $vgpr4_vgpr5
	s_and_saveexec_b64 s[8:9], s[2:3]
	s_xor_b64 s[2:3], exec, s[8:9]
	s_cbranch_execnz .LBB3_72
; %bb.25:
	s_andn2_saveexec_b64 s[2:3], s[2:3]
	s_cbranch_execnz .LBB3_75
.LBB3_26:
	s_or_b64 exec, exec, s[2:3]
	v_mad_u32_u24 v13, v0, 6, v1
	s_and_saveexec_b64 s[2:3], s[6:7]
	s_cbranch_execz .LBB3_28
.LBB3_27:
	global_load_dwordx2 v[4:5], v[4:5], off
	s_waitcnt vmcnt(0)
	ds_write_b64 v13, v[4:5]
.LBB3_28:
	s_or_b64 exec, exec, s[2:3]
	v_or_b32_e32 v4, 0x100, v0
	v_cmp_le_u32_e32 vcc, s19, v4
	s_mov_b64 s[6:7], -1
	v_pk_mov_b32 v[6:7], s[22:23], s[22:23] op_sel:[0,1]
	s_and_saveexec_b64 s[2:3], vcc
; %bb.29:
	v_subrev_u32_e32 v4, s19, v4
	v_cmp_gt_u32_e32 vcc, s27, v4
	v_pk_mov_b32 v[6:7], s[24:25], s[24:25] op_sel:[0,1]
	s_orn2_b64 s[6:7], vcc, exec
; %bb.30:
	s_or_b64 exec, exec, s[2:3]
	s_and_saveexec_b64 s[2:3], s[6:7]
	s_cbranch_execz .LBB3_32
; %bb.31:
	v_lshlrev_b64 v[6:7], 3, v[6:7]
	v_mov_b32_e32 v5, s13
	v_add_co_u32_e32 v6, vcc, s12, v6
	v_addc_co_u32_e32 v7, vcc, v5, v7, vcc
	v_mov_b32_e32 v5, 0
	v_lshlrev_b64 v[4:5], 3, v[4:5]
	v_add_co_u32_e32 v4, vcc, v6, v4
	v_addc_co_u32_e32 v5, vcc, v7, v5, vcc
	global_load_dwordx2 v[4:5], v[4:5], off
	s_waitcnt vmcnt(0)
	ds_write_b64 v13, v[4:5] offset:2048
.LBB3_32:
	s_or_b64 exec, exec, s[2:3]
	v_or_b32_e32 v4, 0x200, v0
	v_cmp_le_u32_e32 vcc, s19, v4
	s_mov_b64 s[6:7], -1
	v_pk_mov_b32 v[6:7], s[22:23], s[22:23] op_sel:[0,1]
	s_and_saveexec_b64 s[2:3], vcc
; %bb.33:
	v_subrev_u32_e32 v4, s19, v4
	v_cmp_gt_u32_e32 vcc, s27, v4
	v_pk_mov_b32 v[6:7], s[24:25], s[24:25] op_sel:[0,1]
	s_orn2_b64 s[6:7], vcc, exec
; %bb.34:
	s_or_b64 exec, exec, s[2:3]
	s_and_saveexec_b64 s[2:3], s[6:7]
	s_cbranch_execz .LBB3_36
; %bb.35:
	v_lshlrev_b64 v[6:7], 3, v[6:7]
	v_mov_b32_e32 v5, s13
	v_add_co_u32_e32 v6, vcc, s12, v6
	v_addc_co_u32_e32 v7, vcc, v5, v7, vcc
	v_mov_b32_e32 v5, 0
	v_lshlrev_b64 v[4:5], 3, v[4:5]
	v_add_co_u32_e32 v4, vcc, v6, v4
	v_addc_co_u32_e32 v5, vcc, v7, v5, vcc
	global_load_dwordx2 v[4:5], v[4:5], off
	s_waitcnt vmcnt(0)
	ds_write_b64 v13, v[4:5] offset:4096
.LBB3_36:
	s_or_b64 exec, exec, s[2:3]
	v_or_b32_e32 v6, 0x300, v0
	v_cmp_le_u32_e32 vcc, s19, v6
                                        ; implicit-def: $vgpr13
                                        ; implicit-def: $vgpr4_vgpr5
	s_and_saveexec_b64 s[2:3], vcc
	s_xor_b64 s[2:3], exec, s[2:3]
	s_cbranch_execz .LBB3_40
; %bb.37:
	v_subrev_u32_e32 v6, s19, v6
	v_cmp_gt_u32_e32 vcc, s27, v6
	s_mov_b64 s[8:9], s[4:5]
                                        ; implicit-def: $vgpr13
                                        ; implicit-def: $vgpr4_vgpr5
	s_and_saveexec_b64 s[6:7], vcc
; %bb.38:
	v_mul_u32_u24_e32 v4, 6, v0
	s_movk_i32 s8, 0x1800
	v_mov_b32_e32 v7, 0
	v_add3_u32 v13, v1, v4, s8
	v_lshlrev_b64 v[4:5], 3, v[6:7]
	v_mov_b32_e32 v6, s30
	v_add_co_u32_e32 v4, vcc, s29, v4
	v_addc_co_u32_e32 v5, vcc, v6, v5, vcc
	s_or_b64 s[8:9], s[4:5], exec
; %bb.39:
	s_or_b64 exec, exec, s[6:7]
	s_andn2_b64 s[4:5], s[4:5], exec
	s_and_b64 s[6:7], s[8:9], exec
	s_or_b64 s[4:5], s[4:5], s[6:7]
                                        ; implicit-def: $vgpr6
.LBB3_40:
	s_andn2_saveexec_b64 s[2:3], s[2:3]
; %bb.41:
	v_lshlrev_b32_e32 v4, 3, v6
	v_mov_b32_e32 v5, s28
	v_add_co_u32_e32 v4, vcc, s26, v4
	v_mul_u32_u24_e32 v6, 6, v0
	s_movk_i32 s6, 0x1800
	v_addc_co_u32_e32 v5, vcc, 0, v5, vcc
	v_add3_u32 v13, v1, v6, s6
	s_or_b64 s[4:5], s[4:5], exec
; %bb.42:
	s_or_b64 exec, exec, s[2:3]
.LBB3_43:
	s_and_saveexec_b64 s[2:3], s[4:5]
	s_cbranch_execz .LBB3_45
; %bb.44:
	global_load_dwordx2 v[4:5], v[4:5], off
	s_waitcnt vmcnt(0)
	ds_write_b64 v13, v[4:5]
.LBB3_45:
	s_or_b64 exec, exec, s[2:3]
	s_and_b64 vcc, exec, s[0:1]
	v_add_u32_e32 v4, s18, v8
	s_waitcnt lgkmcnt(0)
	s_barrier
	s_cbranch_vccnz .LBB3_47
; %bb.46:
	v_lshlrev_b32_e32 v13, 3, v12
	v_lshlrev_b32_e32 v16, 3, v11
	;; [unrolled: 1-line block ×3, first 2 shown]
	ds_read_b64 v[14:15], v13
	ds_read_b64 v[16:17], v16
	;; [unrolled: 1-line block ×3, first 2 shown]
	v_mov_b32_e32 v5, 0
	v_lshlrev_b64 v[6:7], 3, v[4:5]
	v_mov_b32_e32 v20, s15
	v_add_co_u32_e32 v6, vcc, s14, v6
	v_addc_co_u32_e32 v7, vcc, v20, v7, vcc
	s_mov_b64 s[0:1], -1
	s_waitcnt lgkmcnt(1)
	global_store_dwordx4 v[6:7], v[14:17], off
	s_waitcnt lgkmcnt(0)
	global_store_dwordx2 v[6:7], v[18:19], off offset:16
	s_cbranch_execz .LBB3_48
	s_branch .LBB3_57
.LBB3_47:
	s_mov_b64 s[0:1], 0
.LBB3_48:
	v_cmp_gt_u32_e32 vcc, s17, v8
	s_and_saveexec_b64 s[2:3], vcc
	s_cbranch_execz .LBB3_50
; %bb.49:
	v_lshlrev_b32_e32 v12, 3, v12
	ds_read_b64 v[12:13], v12
	v_mov_b32_e32 v5, 0
	v_lshlrev_b64 v[6:7], 3, v[4:5]
	v_mov_b32_e32 v5, s15
	v_add_co_u32_e32 v6, vcc, s14, v6
	v_addc_co_u32_e32 v7, vcc, v5, v7, vcc
	s_waitcnt lgkmcnt(0)
	global_store_dwordx2 v[6:7], v[12:13], off
.LBB3_50:
	s_or_b64 exec, exec, s[2:3]
	v_or_b32_e32 v5, 1, v8
	v_cmp_gt_u32_e32 vcc, s17, v5
	s_and_saveexec_b64 s[2:3], vcc
	s_cbranch_execz .LBB3_52
; %bb.51:
	v_lshlrev_b32_e32 v11, 3, v11
	ds_read_b64 v[12:13], v11
	v_mov_b32_e32 v5, 0
	v_lshlrev_b64 v[6:7], 3, v[4:5]
	v_mov_b32_e32 v5, s15
	v_add_co_u32_e32 v6, vcc, s14, v6
	v_addc_co_u32_e32 v7, vcc, v5, v7, vcc
	s_waitcnt lgkmcnt(0)
	global_store_dwordx2 v[6:7], v[12:13], off offset:8
.LBB3_52:
	s_or_b64 exec, exec, s[2:3]
	v_or_b32_e32 v5, 2, v8
	v_cmp_gt_u32_e32 vcc, s17, v5
	s_and_saveexec_b64 s[2:3], vcc
	s_cbranch_execz .LBB3_54
; %bb.53:
	v_lshlrev_b32_e32 v10, 3, v10
	ds_read_b64 v[10:11], v10
	v_mov_b32_e32 v5, 0
	v_lshlrev_b64 v[6:7], 3, v[4:5]
	v_mov_b32_e32 v5, s15
	v_add_co_u32_e32 v6, vcc, s14, v6
	v_addc_co_u32_e32 v7, vcc, v5, v7, vcc
	s_waitcnt lgkmcnt(0)
	global_store_dwordx2 v[6:7], v[10:11], off offset:16
.LBB3_54:
	s_or_b64 exec, exec, s[2:3]
	v_or_b32_e32 v5, 3, v8
	v_cmp_gt_u32_e32 vcc, s17, v5
	s_and_saveexec_b64 s[2:3], vcc
; %bb.55:
	v_mov_b32_e32 v5, 0
	s_or_b64 s[0:1], s[0:1], exec
; %bb.56:
	s_or_b64 exec, exec, s[2:3]
.LBB3_57:
	s_and_saveexec_b64 s[2:3], s[0:1]
	s_cbranch_execz .LBB3_59
; %bb.58:
	v_lshlrev_b32_e32 v6, 3, v9
	ds_read_b64 v[6:7], v6
	v_lshlrev_b64 v[4:5], 3, v[4:5]
	v_mov_b32_e32 v10, s15
	v_add_co_u32_e32 v4, vcc, s14, v4
	v_addc_co_u32_e32 v5, vcc, v10, v5, vcc
	s_waitcnt lgkmcnt(0)
	global_store_dwordx2 v[4:5], v[6:7], off offset:24
.LBB3_59:
	s_or_b64 exec, exec, s[2:3]
	v_lshrrev_b32_e32 v4, 2, v0
	v_and_b32_e32 v4, 60, v4
	v_lshl_add_u32 v4, v8, 1, v4
	s_barrier
	s_barrier
	ds_write2_b32 v4, v2, v3 offset1:1
	v_lshrrev_b32_e32 v2, 4, v0
	v_and_b32_e32 v2, 12, v2
	v_or_b32_e32 v6, 0x100, v0
	v_add_u32_e32 v7, v1, v2
	v_lshrrev_b32_e32 v2, 4, v6
	v_and_b32_e32 v2, 28, v2
	v_or_b32_e32 v5, 0x200, v0
	s_mov_b32 s19, 0
	v_add_u32_e32 v8, v1, v2
	v_lshrrev_b32_e32 v2, 4, v5
	s_lshl_b64 s[0:1], s[18:19], 1
	v_and_b32_e32 v2, 44, v2
	v_or_b32_e32 v4, 0x300, v0
	s_add_u32 s0, s10, s0
	v_add_u32_e32 v9, v1, v2
	v_lshrrev_b32_e32 v2, 4, v4
	s_addc_u32 s1, s11, s1
	v_and_b32_e32 v2, 60, v2
	v_add_u32_e32 v10, v1, v2
	v_mov_b32_e32 v3, s1
	v_add_co_u32_e32 v2, vcc, s0, v1
	v_addc_co_u32_e32 v3, vcc, 0, v3, vcc
	s_and_b64 vcc, exec, s[20:21]
	s_waitcnt lgkmcnt(0)
	s_cbranch_vccz .LBB3_61
; %bb.60:
	s_barrier
	ds_read_u16 v11, v7
	ds_read_u16 v12, v8 offset:512
	ds_read_u16 v13, v9 offset:1024
	;; [unrolled: 1-line block ×3, first 2 shown]
	s_waitcnt lgkmcnt(3)
	global_store_short v[2:3], v11, off
	s_waitcnt lgkmcnt(2)
	global_store_short v[2:3], v12, off offset:512
	s_waitcnt lgkmcnt(1)
	global_store_short v[2:3], v13, off offset:1024
	s_mov_b64 s[0:1], -1
	s_cbranch_execz .LBB3_62
	s_branch .LBB3_67
.LBB3_61:
	s_mov_b64 s[0:1], 0
                                        ; implicit-def: $vgpr1
.LBB3_62:
	s_barrier
	s_waitcnt lgkmcnt(0)
	ds_read_u16 v11, v8 offset:512
	ds_read_u16 v8, v9 offset:1024
	ds_read_u16 v1, v10 offset:1536
	s_sub_i32 s2, s16, s18
	v_cmp_gt_u32_e32 vcc, s2, v0
	s_and_saveexec_b64 s[0:1], vcc
	s_cbranch_execnz .LBB3_76
; %bb.63:
	s_or_b64 exec, exec, s[0:1]
	v_cmp_gt_u32_e32 vcc, s2, v6
	s_and_saveexec_b64 s[0:1], vcc
	s_cbranch_execnz .LBB3_77
.LBB3_64:
	s_or_b64 exec, exec, s[0:1]
	v_cmp_gt_u32_e32 vcc, s2, v5
	s_and_saveexec_b64 s[0:1], vcc
	s_cbranch_execz .LBB3_66
.LBB3_65:
	s_waitcnt lgkmcnt(1)
	global_store_short v[2:3], v8, off offset:1024
.LBB3_66:
	s_or_b64 exec, exec, s[0:1]
	v_cmp_gt_u32_e64 s[0:1], s2, v4
.LBB3_67:
	s_and_saveexec_b64 s[2:3], s[0:1]
	s_cbranch_execz .LBB3_69
; %bb.68:
	s_waitcnt lgkmcnt(0)
	global_store_short v[2:3], v1, off offset:1536
.LBB3_69:
	s_endpgm
.LBB3_70:
	v_mov_b32_e32 v2, s28
	v_add_co_u32_e32 v5, vcc, s7, v1
	v_mov_b32_e32 v3, 0
	v_addc_co_u32_e32 v7, vcc, 0, v2, vcc
	v_subrev_u32_e32 v2, s19, v0
	v_lshlrev_b64 v[2:3], 1, v[2:3]
	v_mov_b32_e32 v9, s5
	v_add_co_u32_e32 v2, vcc, s4, v2
	v_addc_co_u32_e32 v3, vcc, v9, v3, vcc
	v_cmp_gt_u32_e32 vcc, s19, v0
	v_cndmask_b32_e32 v3, v3, v7, vcc
	v_cndmask_b32_e32 v2, v2, v5, vcc
	global_load_ushort v2, v[2:3], off
	s_or_b64 exec, exec, s[0:1]
	v_cmp_gt_u32_e32 vcc, s17, v6
	s_and_saveexec_b64 s[2:3], vcc
	s_cbranch_execz .LBB3_6
.LBB3_71:
	v_mov_b32_e32 v7, 0
	v_lshlrev_b64 v[10:11], 1, v[6:7]
	v_mov_b32_e32 v5, s28
	v_add_co_u32_e32 v9, vcc, s7, v10
	v_addc_co_u32_e32 v5, vcc, v5, v11, vcc
	v_cmp_gt_u32_e32 vcc, s19, v6
	v_subrev_u32_e32 v6, s19, v6
	v_lshlrev_b64 v[6:7], 1, v[6:7]
	v_mov_b32_e32 v10, s5
	v_add_co_u32_e64 v6, s[0:1], s4, v6
	v_addc_co_u32_e64 v7, s[0:1], v10, v7, s[0:1]
	v_cndmask_b32_e32 v7, v7, v5, vcc
	v_cndmask_b32_e32 v6, v6, v9, vcc
	global_load_ushort v5, v[6:7], off
	s_mov_b32 s0, 0x5040100
	s_waitcnt vmcnt(0)
	v_perm_b32 v2, v5, v2, s0
	s_or_b64 exec, exec, s[2:3]
	v_cmp_gt_u32_e32 vcc, s17, v4
	s_and_saveexec_b64 s[0:1], vcc
	s_cbranch_execnz .LBB3_7
	s_branch .LBB3_8
.LBB3_72:
	v_subrev_u32_e32 v6, s19, v0
	v_cmp_gt_u32_e32 vcc, s27, v6
                                        ; implicit-def: $vgpr4_vgpr5
	s_and_saveexec_b64 s[8:9], vcc
	s_xor_b64 s[8:9], exec, s[8:9]
; %bb.73:
	v_mov_b32_e32 v7, 0
	v_lshlrev_b64 v[4:5], 3, v[6:7]
	v_mov_b32_e32 v6, s30
	v_add_co_u32_e32 v4, vcc, s29, v4
	s_mov_b64 s[6:7], exec
	v_addc_co_u32_e32 v5, vcc, v6, v5, vcc
; %bb.74:
	s_or_b64 exec, exec, s[8:9]
	s_and_b64 s[6:7], s[6:7], exec
	s_andn2_saveexec_b64 s[2:3], s[2:3]
	s_cbranch_execz .LBB3_26
.LBB3_75:
	v_lshlrev_b32_e32 v4, 3, v0
	v_mov_b32_e32 v5, s28
	v_add_co_u32_e32 v4, vcc, s26, v4
	v_addc_co_u32_e32 v5, vcc, 0, v5, vcc
	s_or_b64 s[6:7], s[6:7], exec
	s_or_b64 exec, exec, s[2:3]
	v_mad_u32_u24 v13, v0, 6, v1
	s_and_saveexec_b64 s[2:3], s[6:7]
	s_cbranch_execnz .LBB3_27
	s_branch .LBB3_28
.LBB3_76:
	ds_read_u16 v0, v7
	s_waitcnt lgkmcnt(0)
	global_store_short v[2:3], v0, off
	s_or_b64 exec, exec, s[0:1]
	v_cmp_gt_u32_e32 vcc, s2, v6
	s_and_saveexec_b64 s[0:1], vcc
	s_cbranch_execz .LBB3_64
.LBB3_77:
	s_waitcnt lgkmcnt(2)
	global_store_short v[2:3], v11, off offset:512
	s_or_b64 exec, exec, s[0:1]
	v_cmp_gt_u32_e32 vcc, s2, v5
	s_and_saveexec_b64 s[0:1], vcc
	s_cbranch_execnz .LBB3_65
	s_branch .LBB3_66
	.section	.rodata,"a",@progbits
	.p2align	6, 0x0
	.amdhsa_kernel _ZN7rocprim17ROCPRIM_304000_NS6detail35device_block_merge_mergepath_kernelINS1_37wrapped_merge_sort_block_merge_configINS0_14default_configEtN2at4cuda3cub6detail10OpaqueTypeILi8EEEEEPtSC_PSA_SD_jNS1_19radix_merge_compareILb1ELb0EtNS0_19identity_decomposerEEEEEvT0_T1_T2_T3_T4_SL_jT5_PKSL_NS1_7vsmem_tE
		.amdhsa_group_segment_fixed_size 8208
		.amdhsa_private_segment_fixed_size 0
		.amdhsa_kernarg_size 320
		.amdhsa_user_sgpr_count 6
		.amdhsa_user_sgpr_private_segment_buffer 1
		.amdhsa_user_sgpr_dispatch_ptr 0
		.amdhsa_user_sgpr_queue_ptr 0
		.amdhsa_user_sgpr_kernarg_segment_ptr 1
		.amdhsa_user_sgpr_dispatch_id 0
		.amdhsa_user_sgpr_flat_scratch_init 0
		.amdhsa_user_sgpr_kernarg_preload_length 0
		.amdhsa_user_sgpr_kernarg_preload_offset 0
		.amdhsa_user_sgpr_private_segment_size 0
		.amdhsa_uses_dynamic_stack 0
		.amdhsa_system_sgpr_private_segment_wavefront_offset 0
		.amdhsa_system_sgpr_workgroup_id_x 1
		.amdhsa_system_sgpr_workgroup_id_y 1
		.amdhsa_system_sgpr_workgroup_id_z 1
		.amdhsa_system_sgpr_workgroup_info 0
		.amdhsa_system_vgpr_workitem_id 0
		.amdhsa_next_free_vgpr 23
		.amdhsa_next_free_sgpr 31
		.amdhsa_accum_offset 24
		.amdhsa_reserve_vcc 1
		.amdhsa_reserve_flat_scratch 0
		.amdhsa_float_round_mode_32 0
		.amdhsa_float_round_mode_16_64 0
		.amdhsa_float_denorm_mode_32 3
		.amdhsa_float_denorm_mode_16_64 3
		.amdhsa_dx10_clamp 1
		.amdhsa_ieee_mode 1
		.amdhsa_fp16_overflow 0
		.amdhsa_tg_split 0
		.amdhsa_exception_fp_ieee_invalid_op 0
		.amdhsa_exception_fp_denorm_src 0
		.amdhsa_exception_fp_ieee_div_zero 0
		.amdhsa_exception_fp_ieee_overflow 0
		.amdhsa_exception_fp_ieee_underflow 0
		.amdhsa_exception_fp_ieee_inexact 0
		.amdhsa_exception_int_div_zero 0
	.end_amdhsa_kernel
	.section	.text._ZN7rocprim17ROCPRIM_304000_NS6detail35device_block_merge_mergepath_kernelINS1_37wrapped_merge_sort_block_merge_configINS0_14default_configEtN2at4cuda3cub6detail10OpaqueTypeILi8EEEEEPtSC_PSA_SD_jNS1_19radix_merge_compareILb1ELb0EtNS0_19identity_decomposerEEEEEvT0_T1_T2_T3_T4_SL_jT5_PKSL_NS1_7vsmem_tE,"axG",@progbits,_ZN7rocprim17ROCPRIM_304000_NS6detail35device_block_merge_mergepath_kernelINS1_37wrapped_merge_sort_block_merge_configINS0_14default_configEtN2at4cuda3cub6detail10OpaqueTypeILi8EEEEEPtSC_PSA_SD_jNS1_19radix_merge_compareILb1ELb0EtNS0_19identity_decomposerEEEEEvT0_T1_T2_T3_T4_SL_jT5_PKSL_NS1_7vsmem_tE,comdat
.Lfunc_end3:
	.size	_ZN7rocprim17ROCPRIM_304000_NS6detail35device_block_merge_mergepath_kernelINS1_37wrapped_merge_sort_block_merge_configINS0_14default_configEtN2at4cuda3cub6detail10OpaqueTypeILi8EEEEEPtSC_PSA_SD_jNS1_19radix_merge_compareILb1ELb0EtNS0_19identity_decomposerEEEEEvT0_T1_T2_T3_T4_SL_jT5_PKSL_NS1_7vsmem_tE, .Lfunc_end3-_ZN7rocprim17ROCPRIM_304000_NS6detail35device_block_merge_mergepath_kernelINS1_37wrapped_merge_sort_block_merge_configINS0_14default_configEtN2at4cuda3cub6detail10OpaqueTypeILi8EEEEEPtSC_PSA_SD_jNS1_19radix_merge_compareILb1ELb0EtNS0_19identity_decomposerEEEEEvT0_T1_T2_T3_T4_SL_jT5_PKSL_NS1_7vsmem_tE
                                        ; -- End function
	.section	.AMDGPU.csdata,"",@progbits
; Kernel info:
; codeLenInByte = 3564
; NumSgprs: 35
; NumVgprs: 23
; NumAgprs: 0
; TotalNumVgprs: 23
; ScratchSize: 0
; MemoryBound: 1
; FloatMode: 240
; IeeeMode: 1
; LDSByteSize: 8208 bytes/workgroup (compile time only)
; SGPRBlocks: 4
; VGPRBlocks: 2
; NumSGPRsForWavesPerEU: 35
; NumVGPRsForWavesPerEU: 23
; AccumOffset: 24
; Occupancy: 7
; WaveLimiterHint : 1
; COMPUTE_PGM_RSRC2:SCRATCH_EN: 0
; COMPUTE_PGM_RSRC2:USER_SGPR: 6
; COMPUTE_PGM_RSRC2:TRAP_HANDLER: 0
; COMPUTE_PGM_RSRC2:TGID_X_EN: 1
; COMPUTE_PGM_RSRC2:TGID_Y_EN: 1
; COMPUTE_PGM_RSRC2:TGID_Z_EN: 1
; COMPUTE_PGM_RSRC2:TIDIG_COMP_CNT: 0
; COMPUTE_PGM_RSRC3_GFX90A:ACCUM_OFFSET: 5
; COMPUTE_PGM_RSRC3_GFX90A:TG_SPLIT: 0
	.section	.text._ZN7rocprim17ROCPRIM_304000_NS6detail33device_block_merge_oddeven_kernelINS1_37wrapped_merge_sort_block_merge_configINS0_14default_configEtN2at4cuda3cub6detail10OpaqueTypeILi8EEEEEPtSC_PSA_SD_jNS1_19radix_merge_compareILb1ELb0EtNS0_19identity_decomposerEEEEEvT0_T1_T2_T3_T4_SL_T5_,"axG",@progbits,_ZN7rocprim17ROCPRIM_304000_NS6detail33device_block_merge_oddeven_kernelINS1_37wrapped_merge_sort_block_merge_configINS0_14default_configEtN2at4cuda3cub6detail10OpaqueTypeILi8EEEEEPtSC_PSA_SD_jNS1_19radix_merge_compareILb1ELb0EtNS0_19identity_decomposerEEEEEvT0_T1_T2_T3_T4_SL_T5_,comdat
	.protected	_ZN7rocprim17ROCPRIM_304000_NS6detail33device_block_merge_oddeven_kernelINS1_37wrapped_merge_sort_block_merge_configINS0_14default_configEtN2at4cuda3cub6detail10OpaqueTypeILi8EEEEEPtSC_PSA_SD_jNS1_19radix_merge_compareILb1ELb0EtNS0_19identity_decomposerEEEEEvT0_T1_T2_T3_T4_SL_T5_ ; -- Begin function _ZN7rocprim17ROCPRIM_304000_NS6detail33device_block_merge_oddeven_kernelINS1_37wrapped_merge_sort_block_merge_configINS0_14default_configEtN2at4cuda3cub6detail10OpaqueTypeILi8EEEEEPtSC_PSA_SD_jNS1_19radix_merge_compareILb1ELb0EtNS0_19identity_decomposerEEEEEvT0_T1_T2_T3_T4_SL_T5_
	.globl	_ZN7rocprim17ROCPRIM_304000_NS6detail33device_block_merge_oddeven_kernelINS1_37wrapped_merge_sort_block_merge_configINS0_14default_configEtN2at4cuda3cub6detail10OpaqueTypeILi8EEEEEPtSC_PSA_SD_jNS1_19radix_merge_compareILb1ELb0EtNS0_19identity_decomposerEEEEEvT0_T1_T2_T3_T4_SL_T5_
	.p2align	8
	.type	_ZN7rocprim17ROCPRIM_304000_NS6detail33device_block_merge_oddeven_kernelINS1_37wrapped_merge_sort_block_merge_configINS0_14default_configEtN2at4cuda3cub6detail10OpaqueTypeILi8EEEEEPtSC_PSA_SD_jNS1_19radix_merge_compareILb1ELb0EtNS0_19identity_decomposerEEEEEvT0_T1_T2_T3_T4_SL_T5_,@function
_ZN7rocprim17ROCPRIM_304000_NS6detail33device_block_merge_oddeven_kernelINS1_37wrapped_merge_sort_block_merge_configINS0_14default_configEtN2at4cuda3cub6detail10OpaqueTypeILi8EEEEEPtSC_PSA_SD_jNS1_19radix_merge_compareILb1ELb0EtNS0_19identity_decomposerEEEEEvT0_T1_T2_T3_T4_SL_T5_: ; @_ZN7rocprim17ROCPRIM_304000_NS6detail33device_block_merge_oddeven_kernelINS1_37wrapped_merge_sort_block_merge_configINS0_14default_configEtN2at4cuda3cub6detail10OpaqueTypeILi8EEEEEPtSC_PSA_SD_jNS1_19radix_merge_compareILb1ELb0EtNS0_19identity_decomposerEEEEEvT0_T1_T2_T3_T4_SL_T5_
; %bb.0:
	s_load_dwordx2 s[16:17], s[4:5], 0x20
	s_waitcnt lgkmcnt(0)
	s_lshr_b32 s2, s16, 8
	s_cmp_lg_u32 s6, s2
	s_cselect_b64 s[0:1], -1, 0
	s_cmp_eq_u32 s6, s2
	s_cselect_b64 s[18:19], -1, 0
	s_lshl_b32 s20, s6, 8
	s_sub_i32 s2, s16, s20
	v_cmp_gt_u32_e64 s[2:3], s2, v0
	s_or_b64 s[0:1], s[0:1], s[2:3]
	s_and_saveexec_b64 s[8:9], s[0:1]
	s_cbranch_execz .LBB4_26
; %bb.1:
	s_load_dwordx8 s[8:15], s[4:5], 0x0
	s_mov_b32 s21, 0
	s_lshl_b64 s[0:1], s[20:21], 1
	v_lshlrev_b32_e32 v4, 3, v0
	v_lshlrev_b32_e32 v1, 1, v0
	s_waitcnt lgkmcnt(0)
	s_add_u32 s0, s8, s0
	s_addc_u32 s1, s9, s1
	s_lshl_b64 s[4:5], s[20:21], 3
	s_add_u32 s4, s12, s4
	s_addc_u32 s5, s13, s5
	global_load_dwordx2 v[2:3], v4, s[4:5]
	global_load_ushort v6, v1, s[0:1]
	s_lshr_b32 s0, s17, 8
	s_sub_i32 s1, 0, s0
	s_and_b32 s1, s6, s1
	s_and_b32 s0, s1, s0
	s_lshl_b32 s22, s1, 8
	s_sub_i32 s6, 0, s17
	s_cmp_eq_u32 s0, 0
	s_cselect_b64 s[0:1], -1, 0
	s_and_b64 s[4:5], s[0:1], exec
	s_cselect_b32 s21, s17, s6
	s_add_i32 s21, s21, s22
	s_cmp_lt_u32 s21, s16
	v_add_u32_e32 v4, s20, v0
	s_cbranch_scc1 .LBB4_6
; %bb.2:
	s_and_b64 vcc, exec, s[18:19]
	s_cbranch_vccz .LBB4_7
; %bb.3:
	v_cmp_gt_u32_e32 vcc, s16, v4
	s_mov_b64 s[6:7], 0
	s_mov_b64 s[4:5], 0
                                        ; implicit-def: $vgpr0_vgpr1
	s_and_saveexec_b64 s[12:13], vcc
	s_cbranch_execz .LBB4_5
; %bb.4:
	v_mov_b32_e32 v5, 0
	v_lshlrev_b64 v[0:1], 3, v[4:5]
	v_mov_b32_e32 v7, s15
	v_add_co_u32_e32 v0, vcc, s14, v0
	v_addc_co_u32_e32 v1, vcc, v7, v1, vcc
	v_lshlrev_b64 v[8:9], 1, v[4:5]
	v_mov_b32_e32 v5, s11
	v_add_co_u32_e32 v8, vcc, s10, v8
	s_mov_b64 s[4:5], exec
	v_addc_co_u32_e32 v9, vcc, v5, v9, vcc
	s_waitcnt vmcnt(0)
	global_store_short v[8:9], v6, off
.LBB4_5:
	s_or_b64 exec, exec, s[12:13]
	s_and_b64 vcc, exec, s[6:7]
	s_cbranch_vccnz .LBB4_8
	s_branch .LBB4_9
.LBB4_6:
	s_mov_b64 s[4:5], 0
                                        ; implicit-def: $vgpr0_vgpr1
	s_cbranch_execnz .LBB4_10
	s_branch .LBB4_24
.LBB4_7:
	s_mov_b64 s[4:5], 0
                                        ; implicit-def: $vgpr0_vgpr1
	s_cbranch_execz .LBB4_9
.LBB4_8:
	v_mov_b32_e32 v5, 0
	v_lshlrev_b64 v[0:1], 1, v[4:5]
	v_mov_b32_e32 v7, s11
	v_add_co_u32_e32 v0, vcc, s10, v0
	v_addc_co_u32_e32 v1, vcc, v7, v1, vcc
	s_waitcnt vmcnt(0)
	global_store_short v[0:1], v6, off
	v_lshlrev_b64 v[0:1], 3, v[4:5]
	v_mov_b32_e32 v5, s15
	v_add_co_u32_e32 v0, vcc, s14, v0
	v_addc_co_u32_e32 v1, vcc, v5, v1, vcc
	s_or_b64 s[4:5], s[4:5], exec
.LBB4_9:
	s_branch .LBB4_24
.LBB4_10:
	s_min_u32 s12, s21, s16
	s_add_i32 s6, s12, s17
	s_min_u32 s13, s6, s16
	s_min_u32 s6, s22, s12
	s_add_i32 s22, s22, s12
	v_subrev_u32_e32 v0, s22, v4
	v_add_u32_e32 v4, s6, v0
	s_and_b64 vcc, exec, s[18:19]
	s_cbranch_vccz .LBB4_18
; %bb.11:
                                        ; implicit-def: $vgpr0_vgpr1
	s_and_saveexec_b64 s[6:7], s[2:3]
	s_cbranch_execz .LBB4_17
; %bb.12:
	s_cmp_ge_u32 s21, s13
	v_mov_b32_e32 v0, s12
	s_cbranch_scc1 .LBB4_16
; %bb.13:
	s_mov_b64 s[2:3], 0
	v_mov_b32_e32 v1, s13
	v_mov_b32_e32 v0, s12
.LBB4_14:                               ; =>This Inner Loop Header: Depth=1
	v_add_u32_e32 v5, v0, v1
	v_and_b32_e32 v7, -2, v5
	global_load_ushort v7, v7, s[8:9]
	v_lshrrev_b32_e32 v5, 1, v5
	v_add_u32_e32 v8, 1, v5
	s_waitcnt vmcnt(0)
	v_cmp_gt_u16_e32 vcc, v7, v6
	v_cndmask_b32_e64 v9, 0, 1, vcc
	v_cmp_le_u16_e32 vcc, v6, v7
	v_cndmask_b32_e64 v7, 0, 1, vcc
	v_cndmask_b32_e64 v7, v7, v9, s[0:1]
	v_and_b32_e32 v7, 1, v7
	v_cmp_eq_u32_e32 vcc, 1, v7
	v_cndmask_b32_e32 v1, v5, v1, vcc
	v_cndmask_b32_e32 v0, v0, v8, vcc
	v_cmp_ge_u32_e32 vcc, v0, v1
	s_or_b64 s[2:3], vcc, s[2:3]
	s_andn2_b64 exec, exec, s[2:3]
	s_cbranch_execnz .LBB4_14
; %bb.15:
	s_or_b64 exec, exec, s[2:3]
.LBB4_16:
	v_add_u32_e32 v0, v0, v4
	v_mov_b32_e32 v1, 0
	v_lshlrev_b64 v[8:9], 1, v[0:1]
	v_mov_b32_e32 v5, s11
	v_add_co_u32_e32 v8, vcc, s10, v8
	v_addc_co_u32_e32 v9, vcc, v5, v9, vcc
	v_lshlrev_b64 v[0:1], 3, v[0:1]
	v_mov_b32_e32 v5, s15
	v_add_co_u32_e32 v0, vcc, s14, v0
	s_waitcnt vmcnt(0)
	global_store_short v[8:9], v6, off
	v_addc_co_u32_e32 v1, vcc, v5, v1, vcc
	s_or_b64 s[4:5], s[4:5], exec
.LBB4_17:
	s_or_b64 exec, exec, s[6:7]
	s_branch .LBB4_24
.LBB4_18:
                                        ; implicit-def: $vgpr0_vgpr1
	s_cbranch_execz .LBB4_24
; %bb.19:
	s_cmp_ge_u32 s21, s13
	v_mov_b32_e32 v0, s12
	s_cbranch_scc1 .LBB4_23
; %bb.20:
	s_mov_b64 s[2:3], 0
	v_mov_b32_e32 v1, s13
	v_mov_b32_e32 v0, s12
.LBB4_21:                               ; =>This Inner Loop Header: Depth=1
	v_add_u32_e32 v5, v0, v1
	v_and_b32_e32 v7, -2, v5
	global_load_ushort v7, v7, s[8:9]
	v_lshrrev_b32_e32 v5, 1, v5
	v_add_u32_e32 v8, 1, v5
	s_waitcnt vmcnt(0)
	v_cmp_gt_u16_e32 vcc, v7, v6
	v_cndmask_b32_e64 v9, 0, 1, vcc
	v_cmp_le_u16_e32 vcc, v6, v7
	v_cndmask_b32_e64 v7, 0, 1, vcc
	v_cndmask_b32_e64 v7, v7, v9, s[0:1]
	v_and_b32_e32 v7, 1, v7
	v_cmp_eq_u32_e32 vcc, 1, v7
	v_cndmask_b32_e32 v1, v5, v1, vcc
	v_cndmask_b32_e32 v0, v0, v8, vcc
	v_cmp_ge_u32_e32 vcc, v0, v1
	s_or_b64 s[2:3], vcc, s[2:3]
	s_andn2_b64 exec, exec, s[2:3]
	s_cbranch_execnz .LBB4_21
; %bb.22:
	s_or_b64 exec, exec, s[2:3]
.LBB4_23:
	v_add_u32_e32 v0, v0, v4
	v_mov_b32_e32 v1, 0
	v_lshlrev_b64 v[4:5], 1, v[0:1]
	v_mov_b32_e32 v7, s11
	v_add_co_u32_e32 v4, vcc, s10, v4
	v_addc_co_u32_e32 v5, vcc, v7, v5, vcc
	v_lshlrev_b64 v[0:1], 3, v[0:1]
	s_waitcnt vmcnt(0)
	global_store_short v[4:5], v6, off
	v_mov_b32_e32 v4, s15
	v_add_co_u32_e32 v0, vcc, s14, v0
	v_addc_co_u32_e32 v1, vcc, v4, v1, vcc
	s_mov_b64 s[4:5], -1
.LBB4_24:
	s_and_b64 exec, exec, s[4:5]
	s_cbranch_execz .LBB4_26
; %bb.25:
	s_waitcnt vmcnt(1)
	global_store_dwordx2 v[0:1], v[2:3], off
.LBB4_26:
	s_endpgm
	.section	.rodata,"a",@progbits
	.p2align	6, 0x0
	.amdhsa_kernel _ZN7rocprim17ROCPRIM_304000_NS6detail33device_block_merge_oddeven_kernelINS1_37wrapped_merge_sort_block_merge_configINS0_14default_configEtN2at4cuda3cub6detail10OpaqueTypeILi8EEEEEPtSC_PSA_SD_jNS1_19radix_merge_compareILb1ELb0EtNS0_19identity_decomposerEEEEEvT0_T1_T2_T3_T4_SL_T5_
		.amdhsa_group_segment_fixed_size 0
		.amdhsa_private_segment_fixed_size 0
		.amdhsa_kernarg_size 44
		.amdhsa_user_sgpr_count 6
		.amdhsa_user_sgpr_private_segment_buffer 1
		.amdhsa_user_sgpr_dispatch_ptr 0
		.amdhsa_user_sgpr_queue_ptr 0
		.amdhsa_user_sgpr_kernarg_segment_ptr 1
		.amdhsa_user_sgpr_dispatch_id 0
		.amdhsa_user_sgpr_flat_scratch_init 0
		.amdhsa_user_sgpr_kernarg_preload_length 0
		.amdhsa_user_sgpr_kernarg_preload_offset 0
		.amdhsa_user_sgpr_private_segment_size 0
		.amdhsa_uses_dynamic_stack 0
		.amdhsa_system_sgpr_private_segment_wavefront_offset 0
		.amdhsa_system_sgpr_workgroup_id_x 1
		.amdhsa_system_sgpr_workgroup_id_y 0
		.amdhsa_system_sgpr_workgroup_id_z 0
		.amdhsa_system_sgpr_workgroup_info 0
		.amdhsa_system_vgpr_workitem_id 0
		.amdhsa_next_free_vgpr 10
		.amdhsa_next_free_sgpr 23
		.amdhsa_accum_offset 12
		.amdhsa_reserve_vcc 1
		.amdhsa_reserve_flat_scratch 0
		.amdhsa_float_round_mode_32 0
		.amdhsa_float_round_mode_16_64 0
		.amdhsa_float_denorm_mode_32 3
		.amdhsa_float_denorm_mode_16_64 3
		.amdhsa_dx10_clamp 1
		.amdhsa_ieee_mode 1
		.amdhsa_fp16_overflow 0
		.amdhsa_tg_split 0
		.amdhsa_exception_fp_ieee_invalid_op 0
		.amdhsa_exception_fp_denorm_src 0
		.amdhsa_exception_fp_ieee_div_zero 0
		.amdhsa_exception_fp_ieee_overflow 0
		.amdhsa_exception_fp_ieee_underflow 0
		.amdhsa_exception_fp_ieee_inexact 0
		.amdhsa_exception_int_div_zero 0
	.end_amdhsa_kernel
	.section	.text._ZN7rocprim17ROCPRIM_304000_NS6detail33device_block_merge_oddeven_kernelINS1_37wrapped_merge_sort_block_merge_configINS0_14default_configEtN2at4cuda3cub6detail10OpaqueTypeILi8EEEEEPtSC_PSA_SD_jNS1_19radix_merge_compareILb1ELb0EtNS0_19identity_decomposerEEEEEvT0_T1_T2_T3_T4_SL_T5_,"axG",@progbits,_ZN7rocprim17ROCPRIM_304000_NS6detail33device_block_merge_oddeven_kernelINS1_37wrapped_merge_sort_block_merge_configINS0_14default_configEtN2at4cuda3cub6detail10OpaqueTypeILi8EEEEEPtSC_PSA_SD_jNS1_19radix_merge_compareILb1ELb0EtNS0_19identity_decomposerEEEEEvT0_T1_T2_T3_T4_SL_T5_,comdat
.Lfunc_end4:
	.size	_ZN7rocprim17ROCPRIM_304000_NS6detail33device_block_merge_oddeven_kernelINS1_37wrapped_merge_sort_block_merge_configINS0_14default_configEtN2at4cuda3cub6detail10OpaqueTypeILi8EEEEEPtSC_PSA_SD_jNS1_19radix_merge_compareILb1ELb0EtNS0_19identity_decomposerEEEEEvT0_T1_T2_T3_T4_SL_T5_, .Lfunc_end4-_ZN7rocprim17ROCPRIM_304000_NS6detail33device_block_merge_oddeven_kernelINS1_37wrapped_merge_sort_block_merge_configINS0_14default_configEtN2at4cuda3cub6detail10OpaqueTypeILi8EEEEEPtSC_PSA_SD_jNS1_19radix_merge_compareILb1ELb0EtNS0_19identity_decomposerEEEEEvT0_T1_T2_T3_T4_SL_T5_
                                        ; -- End function
	.section	.AMDGPU.csdata,"",@progbits
; Kernel info:
; codeLenInByte = 816
; NumSgprs: 27
; NumVgprs: 10
; NumAgprs: 0
; TotalNumVgprs: 10
; ScratchSize: 0
; MemoryBound: 0
; FloatMode: 240
; IeeeMode: 1
; LDSByteSize: 0 bytes/workgroup (compile time only)
; SGPRBlocks: 3
; VGPRBlocks: 1
; NumSGPRsForWavesPerEU: 27
; NumVGPRsForWavesPerEU: 10
; AccumOffset: 12
; Occupancy: 8
; WaveLimiterHint : 0
; COMPUTE_PGM_RSRC2:SCRATCH_EN: 0
; COMPUTE_PGM_RSRC2:USER_SGPR: 6
; COMPUTE_PGM_RSRC2:TRAP_HANDLER: 0
; COMPUTE_PGM_RSRC2:TGID_X_EN: 1
; COMPUTE_PGM_RSRC2:TGID_Y_EN: 0
; COMPUTE_PGM_RSRC2:TGID_Z_EN: 0
; COMPUTE_PGM_RSRC2:TIDIG_COMP_CNT: 0
; COMPUTE_PGM_RSRC3_GFX90A:ACCUM_OFFSET: 2
; COMPUTE_PGM_RSRC3_GFX90A:TG_SPLIT: 0
	.section	.text._ZN7rocprim17ROCPRIM_304000_NS6detail16transform_kernelINS1_24wrapped_transform_configINS0_14default_configEtEEtPtS6_NS0_8identityItEEEEvT1_mT2_T3_,"axG",@progbits,_ZN7rocprim17ROCPRIM_304000_NS6detail16transform_kernelINS1_24wrapped_transform_configINS0_14default_configEtEEtPtS6_NS0_8identityItEEEEvT1_mT2_T3_,comdat
	.protected	_ZN7rocprim17ROCPRIM_304000_NS6detail16transform_kernelINS1_24wrapped_transform_configINS0_14default_configEtEEtPtS6_NS0_8identityItEEEEvT1_mT2_T3_ ; -- Begin function _ZN7rocprim17ROCPRIM_304000_NS6detail16transform_kernelINS1_24wrapped_transform_configINS0_14default_configEtEEtPtS6_NS0_8identityItEEEEvT1_mT2_T3_
	.globl	_ZN7rocprim17ROCPRIM_304000_NS6detail16transform_kernelINS1_24wrapped_transform_configINS0_14default_configEtEEtPtS6_NS0_8identityItEEEEvT1_mT2_T3_
	.p2align	8
	.type	_ZN7rocprim17ROCPRIM_304000_NS6detail16transform_kernelINS1_24wrapped_transform_configINS0_14default_configEtEEtPtS6_NS0_8identityItEEEEvT1_mT2_T3_,@function
_ZN7rocprim17ROCPRIM_304000_NS6detail16transform_kernelINS1_24wrapped_transform_configINS0_14default_configEtEEtPtS6_NS0_8identityItEEEEvT1_mT2_T3_: ; @_ZN7rocprim17ROCPRIM_304000_NS6detail16transform_kernelINS1_24wrapped_transform_configINS0_14default_configEtEEtPtS6_NS0_8identityItEEEEvT1_mT2_T3_
; %bb.0:
	s_load_dword s7, s[4:5], 0x20
	s_load_dwordx4 s[0:3], s[4:5], 0x0
	s_load_dwordx2 s[16:17], s[4:5], 0x10
	s_lshl_b32 s4, s6, 9
	s_mov_b32 s5, 0
	s_waitcnt lgkmcnt(0)
	s_add_i32 s7, s7, -1
	s_lshl_b64 s[18:19], s[4:5], 1
	s_add_u32 s0, s0, s18
	s_addc_u32 s1, s1, s19
	v_lshlrev_b32_e32 v8, 1, v0
	v_mov_b32_e32 v1, s1
	v_add_co_u32_e32 v6, vcc, s0, v8
	s_cmp_lg_u32 s6, s7
	v_addc_co_u32_e32 v7, vcc, 0, v1, vcc
	s_cbranch_scc0 .LBB5_2
; %bb.1:
	global_load_ushort v2, v[6:7], off
	global_load_ushort v3, v[6:7], off offset:128
	global_load_ushort v4, v[6:7], off offset:256
	;; [unrolled: 1-line block ×7, first 2 shown]
	s_add_u32 s6, s16, s18
	s_addc_u32 s7, s17, s19
	s_mov_b64 s[20:21], -1
	s_waitcnt vmcnt(7)
	global_store_short v8, v2, s[6:7]
	s_waitcnt vmcnt(7)
	global_store_short v8, v3, s[6:7] offset:128
	s_waitcnt vmcnt(7)
	global_store_short v8, v4, s[6:7] offset:256
	;; [unrolled: 2-line block ×6, first 2 shown]
	s_cbranch_execz .LBB5_3
	s_branch .LBB5_32
.LBB5_2:
	s_mov_b64 s[20:21], 0
                                        ; implicit-def: $vgpr1
.LBB5_3:
	s_sub_i32 s14, s2, s4
	v_cmp_gt_u32_e32 vcc, s14, v0
                                        ; implicit-def: $vgpr2_vgpr3_vgpr4_vgpr5
	s_and_saveexec_b64 s[0:1], vcc
	s_cbranch_execz .LBB5_5
; %bb.4:
	global_load_ushort v2, v[6:7], off
.LBB5_5:
	s_or_b64 exec, exec, s[0:1]
	s_waitcnt vmcnt(7)
	v_or_b32_e32 v1, 64, v0
	v_cmp_gt_u32_e64 s[0:1], s14, v1
	s_and_saveexec_b64 s[2:3], s[0:1]
	s_cbranch_execz .LBB5_7
; %bb.6:
	global_load_ushort v1, v[6:7], off offset:128
	s_mov_b32 s4, 0x5040100
	s_waitcnt vmcnt(0)
	v_perm_b32 v2, v1, v2, s4
.LBB5_7:
	s_or_b64 exec, exec, s[2:3]
	v_or_b32_e32 v1, 0x80, v0
	v_cmp_gt_u32_e64 s[2:3], s14, v1
	s_and_saveexec_b64 s[4:5], s[2:3]
	s_cbranch_execz .LBB5_9
; %bb.8:
	global_load_ushort v1, v[6:7], off offset:256
	s_mov_b32 s6, 0xffff
	s_waitcnt vmcnt(0)
	v_bfi_b32 v3, s6, v1, v3
.LBB5_9:
	s_or_b64 exec, exec, s[4:5]
	v_or_b32_e32 v1, 0xc0, v0
	v_cmp_gt_u32_e64 s[4:5], s14, v1
	s_and_saveexec_b64 s[6:7], s[4:5]
	s_cbranch_execz .LBB5_11
; %bb.10:
	global_load_ushort v1, v[6:7], off offset:384
	s_mov_b32 s8, 0x5040100
	s_waitcnt vmcnt(0)
	v_perm_b32 v3, v1, v3, s8
.LBB5_11:
	s_or_b64 exec, exec, s[6:7]
	v_or_b32_e32 v1, 0x100, v0
	v_cmp_gt_u32_e64 s[6:7], s14, v1
	s_and_saveexec_b64 s[8:9], s[6:7]
	s_cbranch_execz .LBB5_13
; %bb.12:
	global_load_ushort v1, v[6:7], off offset:512
	s_mov_b32 s10, 0xffff
	s_waitcnt vmcnt(0)
	v_bfi_b32 v4, s10, v1, v4
.LBB5_13:
	s_or_b64 exec, exec, s[8:9]
	;; [unrolled: 22-line block ×3, first 2 shown]
	v_or_b32_e32 v0, 0x1c0, v0
	v_cmp_gt_u32_e64 s[12:13], s14, v0
	s_and_saveexec_b64 s[14:15], s[12:13]
	s_cbranch_execz .LBB5_19
; %bb.18:
	global_load_ushort v0, v[6:7], off offset:896
	s_mov_b32 s22, 0x5040100
	s_waitcnt vmcnt(0)
	v_perm_b32 v5, v0, v5, s22
.LBB5_19:
	s_or_b64 exec, exec, s[14:15]
	s_add_u32 s14, s16, s18
	s_addc_u32 s15, s17, s19
	v_mov_b32_e32 v1, s15
	v_add_co_u32_e64 v0, s[14:15], s14, v8
	v_addc_co_u32_e64 v1, s[14:15], 0, v1, s[14:15]
	s_and_saveexec_b64 s[14:15], vcc
	s_cbranch_execnz .LBB5_35
; %bb.20:
	s_or_b64 exec, exec, s[14:15]
	s_and_saveexec_b64 s[14:15], s[0:1]
	s_cbranch_execnz .LBB5_36
.LBB5_21:
	s_or_b64 exec, exec, s[14:15]
	s_mov_b32 s14, 0xffff
	s_and_saveexec_b64 s[0:1], s[2:3]
	s_cbranch_execz .LBB5_23
.LBB5_22:
	global_store_short v[0:1], v3, off offset:256
.LBB5_23:
	s_or_b64 exec, exec, s[0:1]
	s_waitcnt vmcnt(0)
	v_bfi_b32 v2, s14, v3, v3
	v_cndmask_b32_e64 v2, v2, v3, s[4:5]
	s_and_saveexec_b64 s[0:1], s[4:5]
	s_cbranch_execz .LBB5_25
; %bb.24:
	global_store_short_d16_hi v[0:1], v2, off offset:384
.LBB5_25:
	s_or_b64 exec, exec, s[0:1]
	s_mov_b32 s2, 0xffff
	v_cndmask_b32_e64 v2, v4, v4, s[6:7]
	s_and_saveexec_b64 s[0:1], s[6:7]
	s_cbranch_execz .LBB5_27
; %bb.26:
	global_store_short v[0:1], v2, off offset:512
.LBB5_27:
	s_or_b64 exec, exec, s[0:1]
	v_bfi_b32 v2, s2, v2, v4
	v_cndmask_b32_e64 v2, v2, v4, s[8:9]
	s_and_saveexec_b64 s[0:1], s[8:9]
	s_cbranch_execnz .LBB5_37
; %bb.28:
	s_or_b64 exec, exec, s[0:1]
	s_and_saveexec_b64 s[0:1], s[10:11]
	s_cbranch_execnz .LBB5_38
.LBB5_29:
	s_or_b64 exec, exec, s[0:1]
                                        ; implicit-def: $vgpr1
	s_and_saveexec_b64 s[0:1], s[12:13]
.LBB5_30:
	v_cndmask_b32_e64 v0, v5, v5, s[12:13]
	v_lshrrev_b32_e32 v1, 16, v0
	s_or_b64 s[20:21], s[20:21], exec
.LBB5_31:
	s_or_b64 exec, exec, s[0:1]
.LBB5_32:
	s_and_saveexec_b64 s[0:1], s[20:21]
	s_cbranch_execnz .LBB5_34
; %bb.33:
	s_endpgm
.LBB5_34:
	s_add_u32 s0, s16, s18
	s_addc_u32 s1, s17, s19
	s_waitcnt vmcnt(7)
	global_store_short v8, v1, s[0:1] offset:896
	s_endpgm
.LBB5_35:
	s_waitcnt vmcnt(0)
	global_store_short v[0:1], v2, off
	s_or_b64 exec, exec, s[14:15]
	s_and_saveexec_b64 s[14:15], s[0:1]
	s_cbranch_execz .LBB5_21
.LBB5_36:
	s_waitcnt vmcnt(0)
	global_store_short_d16_hi v[0:1], v2, off offset:128
	s_or_b64 exec, exec, s[14:15]
	s_mov_b32 s14, 0xffff
	s_and_saveexec_b64 s[0:1], s[2:3]
	s_cbranch_execnz .LBB5_22
	s_branch .LBB5_23
.LBB5_37:
	global_store_short_d16_hi v[0:1], v2, off offset:640
	s_or_b64 exec, exec, s[0:1]
	s_and_saveexec_b64 s[0:1], s[10:11]
	s_cbranch_execz .LBB5_29
.LBB5_38:
	v_cndmask_b32_e64 v2, v5, v5, s[10:11]
	global_store_short v[0:1], v2, off offset:768
	s_or_b64 exec, exec, s[0:1]
                                        ; implicit-def: $vgpr1
	s_and_saveexec_b64 s[0:1], s[12:13]
	s_cbranch_execnz .LBB5_30
	s_branch .LBB5_31
	.section	.rodata,"a",@progbits
	.p2align	6, 0x0
	.amdhsa_kernel _ZN7rocprim17ROCPRIM_304000_NS6detail16transform_kernelINS1_24wrapped_transform_configINS0_14default_configEtEEtPtS6_NS0_8identityItEEEEvT1_mT2_T3_
		.amdhsa_group_segment_fixed_size 0
		.amdhsa_private_segment_fixed_size 0
		.amdhsa_kernarg_size 288
		.amdhsa_user_sgpr_count 6
		.amdhsa_user_sgpr_private_segment_buffer 1
		.amdhsa_user_sgpr_dispatch_ptr 0
		.amdhsa_user_sgpr_queue_ptr 0
		.amdhsa_user_sgpr_kernarg_segment_ptr 1
		.amdhsa_user_sgpr_dispatch_id 0
		.amdhsa_user_sgpr_flat_scratch_init 0
		.amdhsa_user_sgpr_kernarg_preload_length 0
		.amdhsa_user_sgpr_kernarg_preload_offset 0
		.amdhsa_user_sgpr_private_segment_size 0
		.amdhsa_uses_dynamic_stack 0
		.amdhsa_system_sgpr_private_segment_wavefront_offset 0
		.amdhsa_system_sgpr_workgroup_id_x 1
		.amdhsa_system_sgpr_workgroup_id_y 0
		.amdhsa_system_sgpr_workgroup_id_z 0
		.amdhsa_system_sgpr_workgroup_info 0
		.amdhsa_system_vgpr_workitem_id 0
		.amdhsa_next_free_vgpr 12
		.amdhsa_next_free_sgpr 23
		.amdhsa_accum_offset 12
		.amdhsa_reserve_vcc 1
		.amdhsa_reserve_flat_scratch 0
		.amdhsa_float_round_mode_32 0
		.amdhsa_float_round_mode_16_64 0
		.amdhsa_float_denorm_mode_32 3
		.amdhsa_float_denorm_mode_16_64 3
		.amdhsa_dx10_clamp 1
		.amdhsa_ieee_mode 1
		.amdhsa_fp16_overflow 0
		.amdhsa_tg_split 0
		.amdhsa_exception_fp_ieee_invalid_op 0
		.amdhsa_exception_fp_denorm_src 0
		.amdhsa_exception_fp_ieee_div_zero 0
		.amdhsa_exception_fp_ieee_overflow 0
		.amdhsa_exception_fp_ieee_underflow 0
		.amdhsa_exception_fp_ieee_inexact 0
		.amdhsa_exception_int_div_zero 0
	.end_amdhsa_kernel
	.section	.text._ZN7rocprim17ROCPRIM_304000_NS6detail16transform_kernelINS1_24wrapped_transform_configINS0_14default_configEtEEtPtS6_NS0_8identityItEEEEvT1_mT2_T3_,"axG",@progbits,_ZN7rocprim17ROCPRIM_304000_NS6detail16transform_kernelINS1_24wrapped_transform_configINS0_14default_configEtEEtPtS6_NS0_8identityItEEEEvT1_mT2_T3_,comdat
.Lfunc_end5:
	.size	_ZN7rocprim17ROCPRIM_304000_NS6detail16transform_kernelINS1_24wrapped_transform_configINS0_14default_configEtEEtPtS6_NS0_8identityItEEEEvT1_mT2_T3_, .Lfunc_end5-_ZN7rocprim17ROCPRIM_304000_NS6detail16transform_kernelINS1_24wrapped_transform_configINS0_14default_configEtEEtPtS6_NS0_8identityItEEEEvT1_mT2_T3_
                                        ; -- End function
	.section	.AMDGPU.csdata,"",@progbits
; Kernel info:
; codeLenInByte = 1036
; NumSgprs: 27
; NumVgprs: 12
; NumAgprs: 0
; TotalNumVgprs: 12
; ScratchSize: 0
; MemoryBound: 0
; FloatMode: 240
; IeeeMode: 1
; LDSByteSize: 0 bytes/workgroup (compile time only)
; SGPRBlocks: 3
; VGPRBlocks: 1
; NumSGPRsForWavesPerEU: 27
; NumVGPRsForWavesPerEU: 12
; AccumOffset: 12
; Occupancy: 8
; WaveLimiterHint : 1
; COMPUTE_PGM_RSRC2:SCRATCH_EN: 0
; COMPUTE_PGM_RSRC2:USER_SGPR: 6
; COMPUTE_PGM_RSRC2:TRAP_HANDLER: 0
; COMPUTE_PGM_RSRC2:TGID_X_EN: 1
; COMPUTE_PGM_RSRC2:TGID_Y_EN: 0
; COMPUTE_PGM_RSRC2:TGID_Z_EN: 0
; COMPUTE_PGM_RSRC2:TIDIG_COMP_CNT: 0
; COMPUTE_PGM_RSRC3_GFX90A:ACCUM_OFFSET: 2
; COMPUTE_PGM_RSRC3_GFX90A:TG_SPLIT: 0
	.section	.text._ZN7rocprim17ROCPRIM_304000_NS6detail16transform_kernelINS1_24wrapped_transform_configINS0_14default_configEN2at4cuda3cub6detail10OpaqueTypeILi8EEEEESA_PSA_SC_NS0_8identityISA_EEEEvT1_mT2_T3_,"axG",@progbits,_ZN7rocprim17ROCPRIM_304000_NS6detail16transform_kernelINS1_24wrapped_transform_configINS0_14default_configEN2at4cuda3cub6detail10OpaqueTypeILi8EEEEESA_PSA_SC_NS0_8identityISA_EEEEvT1_mT2_T3_,comdat
	.protected	_ZN7rocprim17ROCPRIM_304000_NS6detail16transform_kernelINS1_24wrapped_transform_configINS0_14default_configEN2at4cuda3cub6detail10OpaqueTypeILi8EEEEESA_PSA_SC_NS0_8identityISA_EEEEvT1_mT2_T3_ ; -- Begin function _ZN7rocprim17ROCPRIM_304000_NS6detail16transform_kernelINS1_24wrapped_transform_configINS0_14default_configEN2at4cuda3cub6detail10OpaqueTypeILi8EEEEESA_PSA_SC_NS0_8identityISA_EEEEvT1_mT2_T3_
	.globl	_ZN7rocprim17ROCPRIM_304000_NS6detail16transform_kernelINS1_24wrapped_transform_configINS0_14default_configEN2at4cuda3cub6detail10OpaqueTypeILi8EEEEESA_PSA_SC_NS0_8identityISA_EEEEvT1_mT2_T3_
	.p2align	8
	.type	_ZN7rocprim17ROCPRIM_304000_NS6detail16transform_kernelINS1_24wrapped_transform_configINS0_14default_configEN2at4cuda3cub6detail10OpaqueTypeILi8EEEEESA_PSA_SC_NS0_8identityISA_EEEEvT1_mT2_T3_,@function
_ZN7rocprim17ROCPRIM_304000_NS6detail16transform_kernelINS1_24wrapped_transform_configINS0_14default_configEN2at4cuda3cub6detail10OpaqueTypeILi8EEEEESA_PSA_SC_NS0_8identityISA_EEEEvT1_mT2_T3_: ; @_ZN7rocprim17ROCPRIM_304000_NS6detail16transform_kernelINS1_24wrapped_transform_configINS0_14default_configEN2at4cuda3cub6detail10OpaqueTypeILi8EEEEESA_PSA_SC_NS0_8identityISA_EEEEvT1_mT2_T3_
; %bb.0:
	s_load_dword s7, s[4:5], 0x20
	s_load_dwordx4 s[0:3], s[4:5], 0x0
	s_load_dwordx2 s[8:9], s[4:5], 0x10
	s_lshl_b32 s10, s6, 9
	s_mov_b32 s11, 0
	s_waitcnt lgkmcnt(0)
	s_add_i32 s7, s7, -1
	s_lshl_b64 s[4:5], s[10:11], 3
	s_add_u32 s0, s0, s4
	s_addc_u32 s1, s1, s5
	v_lshlrev_b32_e32 v1, 3, v0
	v_mov_b32_e32 v2, s1
	v_add_co_u32_e32 v4, vcc, s0, v1
	s_cmp_lg_u32 s6, s7
	v_addc_co_u32_e32 v5, vcc, 0, v2, vcc
	s_cbranch_scc0 .LBB6_2
; %bb.1:
	global_load_dwordx2 v[6:7], v[4:5], off
	global_load_dwordx2 v[2:3], v[4:5], off offset:2048
	s_add_u32 s0, s8, s4
	s_addc_u32 s1, s9, s5
	s_waitcnt vmcnt(1)
	global_store_dwordx2 v1, v[6:7], s[0:1]
	s_mov_b64 s[0:1], -1
	s_cbranch_execz .LBB6_3
	s_branch .LBB6_10
.LBB6_2:
	s_mov_b64 s[0:1], 0
                                        ; implicit-def: $vgpr2_vgpr3
.LBB6_3:
	s_sub_i32 s2, s2, s10
	v_cmp_gt_u32_e32 vcc, s2, v0
                                        ; implicit-def: $vgpr6_vgpr7
	s_and_saveexec_b64 s[0:1], vcc
	s_cbranch_execz .LBB6_5
; %bb.4:
	global_load_dwordx2 v[6:7], v[4:5], off
.LBB6_5:
	s_or_b64 exec, exec, s[0:1]
	v_or_b32_e32 v0, 0x100, v0
	v_cmp_gt_u32_e64 s[0:1], s2, v0
                                        ; implicit-def: $vgpr2_vgpr3
	s_and_saveexec_b64 s[2:3], s[0:1]
	s_cbranch_execz .LBB6_7
; %bb.6:
	global_load_dwordx2 v[2:3], v[4:5], off offset:2048
.LBB6_7:
	s_or_b64 exec, exec, s[2:3]
	s_and_saveexec_b64 s[2:3], vcc
	s_xor_b64 s[2:3], exec, s[2:3]
	s_cbranch_execz .LBB6_9
; %bb.8:
	s_add_u32 s6, s8, s4
	s_addc_u32 s7, s9, s5
	s_waitcnt vmcnt(0)
	global_store_dwordx2 v1, v[6:7], s[6:7]
.LBB6_9:
	s_or_b64 exec, exec, s[2:3]
.LBB6_10:
	s_and_saveexec_b64 s[2:3], s[0:1]
	s_cbranch_execnz .LBB6_12
; %bb.11:
	s_endpgm
.LBB6_12:
	s_add_u32 s0, s8, s4
	s_addc_u32 s1, s9, s5
	s_waitcnt vmcnt(0)
	global_store_dwordx2 v1, v[2:3], s[0:1] offset:2048
	s_endpgm
	.section	.rodata,"a",@progbits
	.p2align	6, 0x0
	.amdhsa_kernel _ZN7rocprim17ROCPRIM_304000_NS6detail16transform_kernelINS1_24wrapped_transform_configINS0_14default_configEN2at4cuda3cub6detail10OpaqueTypeILi8EEEEESA_PSA_SC_NS0_8identityISA_EEEEvT1_mT2_T3_
		.amdhsa_group_segment_fixed_size 0
		.amdhsa_private_segment_fixed_size 0
		.amdhsa_kernarg_size 288
		.amdhsa_user_sgpr_count 6
		.amdhsa_user_sgpr_private_segment_buffer 1
		.amdhsa_user_sgpr_dispatch_ptr 0
		.amdhsa_user_sgpr_queue_ptr 0
		.amdhsa_user_sgpr_kernarg_segment_ptr 1
		.amdhsa_user_sgpr_dispatch_id 0
		.amdhsa_user_sgpr_flat_scratch_init 0
		.amdhsa_user_sgpr_kernarg_preload_length 0
		.amdhsa_user_sgpr_kernarg_preload_offset 0
		.amdhsa_user_sgpr_private_segment_size 0
		.amdhsa_uses_dynamic_stack 0
		.amdhsa_system_sgpr_private_segment_wavefront_offset 0
		.amdhsa_system_sgpr_workgroup_id_x 1
		.amdhsa_system_sgpr_workgroup_id_y 0
		.amdhsa_system_sgpr_workgroup_id_z 0
		.amdhsa_system_sgpr_workgroup_info 0
		.amdhsa_system_vgpr_workitem_id 0
		.amdhsa_next_free_vgpr 8
		.amdhsa_next_free_sgpr 12
		.amdhsa_accum_offset 8
		.amdhsa_reserve_vcc 1
		.amdhsa_reserve_flat_scratch 0
		.amdhsa_float_round_mode_32 0
		.amdhsa_float_round_mode_16_64 0
		.amdhsa_float_denorm_mode_32 3
		.amdhsa_float_denorm_mode_16_64 3
		.amdhsa_dx10_clamp 1
		.amdhsa_ieee_mode 1
		.amdhsa_fp16_overflow 0
		.amdhsa_tg_split 0
		.amdhsa_exception_fp_ieee_invalid_op 0
		.amdhsa_exception_fp_denorm_src 0
		.amdhsa_exception_fp_ieee_div_zero 0
		.amdhsa_exception_fp_ieee_overflow 0
		.amdhsa_exception_fp_ieee_underflow 0
		.amdhsa_exception_fp_ieee_inexact 0
		.amdhsa_exception_int_div_zero 0
	.end_amdhsa_kernel
	.section	.text._ZN7rocprim17ROCPRIM_304000_NS6detail16transform_kernelINS1_24wrapped_transform_configINS0_14default_configEN2at4cuda3cub6detail10OpaqueTypeILi8EEEEESA_PSA_SC_NS0_8identityISA_EEEEvT1_mT2_T3_,"axG",@progbits,_ZN7rocprim17ROCPRIM_304000_NS6detail16transform_kernelINS1_24wrapped_transform_configINS0_14default_configEN2at4cuda3cub6detail10OpaqueTypeILi8EEEEESA_PSA_SC_NS0_8identityISA_EEEEvT1_mT2_T3_,comdat
.Lfunc_end6:
	.size	_ZN7rocprim17ROCPRIM_304000_NS6detail16transform_kernelINS1_24wrapped_transform_configINS0_14default_configEN2at4cuda3cub6detail10OpaqueTypeILi8EEEEESA_PSA_SC_NS0_8identityISA_EEEEvT1_mT2_T3_, .Lfunc_end6-_ZN7rocprim17ROCPRIM_304000_NS6detail16transform_kernelINS1_24wrapped_transform_configINS0_14default_configEN2at4cuda3cub6detail10OpaqueTypeILi8EEEEESA_PSA_SC_NS0_8identityISA_EEEEvT1_mT2_T3_
                                        ; -- End function
	.section	.AMDGPU.csdata,"",@progbits
; Kernel info:
; codeLenInByte = 264
; NumSgprs: 16
; NumVgprs: 8
; NumAgprs: 0
; TotalNumVgprs: 8
; ScratchSize: 0
; MemoryBound: 0
; FloatMode: 240
; IeeeMode: 1
; LDSByteSize: 0 bytes/workgroup (compile time only)
; SGPRBlocks: 1
; VGPRBlocks: 0
; NumSGPRsForWavesPerEU: 16
; NumVGPRsForWavesPerEU: 8
; AccumOffset: 8
; Occupancy: 8
; WaveLimiterHint : 1
; COMPUTE_PGM_RSRC2:SCRATCH_EN: 0
; COMPUTE_PGM_RSRC2:USER_SGPR: 6
; COMPUTE_PGM_RSRC2:TRAP_HANDLER: 0
; COMPUTE_PGM_RSRC2:TGID_X_EN: 1
; COMPUTE_PGM_RSRC2:TGID_Y_EN: 0
; COMPUTE_PGM_RSRC2:TGID_Z_EN: 0
; COMPUTE_PGM_RSRC2:TIDIG_COMP_CNT: 0
; COMPUTE_PGM_RSRC3_GFX90A:ACCUM_OFFSET: 1
; COMPUTE_PGM_RSRC3_GFX90A:TG_SPLIT: 0
	.section	.text._ZN7rocprim17ROCPRIM_304000_NS6detail45device_block_merge_mergepath_partition_kernelINS1_37wrapped_merge_sort_block_merge_configINS0_14default_configEtN2at4cuda3cub6detail10OpaqueTypeILi8EEEEEPtjNS1_19radix_merge_compareILb1ELb1EtNS0_19identity_decomposerEEEEEvT0_T1_jPSH_T2_SH_,"axG",@progbits,_ZN7rocprim17ROCPRIM_304000_NS6detail45device_block_merge_mergepath_partition_kernelINS1_37wrapped_merge_sort_block_merge_configINS0_14default_configEtN2at4cuda3cub6detail10OpaqueTypeILi8EEEEEPtjNS1_19radix_merge_compareILb1ELb1EtNS0_19identity_decomposerEEEEEvT0_T1_jPSH_T2_SH_,comdat
	.protected	_ZN7rocprim17ROCPRIM_304000_NS6detail45device_block_merge_mergepath_partition_kernelINS1_37wrapped_merge_sort_block_merge_configINS0_14default_configEtN2at4cuda3cub6detail10OpaqueTypeILi8EEEEEPtjNS1_19radix_merge_compareILb1ELb1EtNS0_19identity_decomposerEEEEEvT0_T1_jPSH_T2_SH_ ; -- Begin function _ZN7rocprim17ROCPRIM_304000_NS6detail45device_block_merge_mergepath_partition_kernelINS1_37wrapped_merge_sort_block_merge_configINS0_14default_configEtN2at4cuda3cub6detail10OpaqueTypeILi8EEEEEPtjNS1_19radix_merge_compareILb1ELb1EtNS0_19identity_decomposerEEEEEvT0_T1_jPSH_T2_SH_
	.globl	_ZN7rocprim17ROCPRIM_304000_NS6detail45device_block_merge_mergepath_partition_kernelINS1_37wrapped_merge_sort_block_merge_configINS0_14default_configEtN2at4cuda3cub6detail10OpaqueTypeILi8EEEEEPtjNS1_19radix_merge_compareILb1ELb1EtNS0_19identity_decomposerEEEEEvT0_T1_jPSH_T2_SH_
	.p2align	8
	.type	_ZN7rocprim17ROCPRIM_304000_NS6detail45device_block_merge_mergepath_partition_kernelINS1_37wrapped_merge_sort_block_merge_configINS0_14default_configEtN2at4cuda3cub6detail10OpaqueTypeILi8EEEEEPtjNS1_19radix_merge_compareILb1ELb1EtNS0_19identity_decomposerEEEEEvT0_T1_jPSH_T2_SH_,@function
_ZN7rocprim17ROCPRIM_304000_NS6detail45device_block_merge_mergepath_partition_kernelINS1_37wrapped_merge_sort_block_merge_configINS0_14default_configEtN2at4cuda3cub6detail10OpaqueTypeILi8EEEEEPtjNS1_19radix_merge_compareILb1ELb1EtNS0_19identity_decomposerEEEEEvT0_T1_jPSH_T2_SH_: ; @_ZN7rocprim17ROCPRIM_304000_NS6detail45device_block_merge_mergepath_partition_kernelINS1_37wrapped_merge_sort_block_merge_configINS0_14default_configEtN2at4cuda3cub6detail10OpaqueTypeILi8EEEEEPtjNS1_19radix_merge_compareILb1ELb1EtNS0_19identity_decomposerEEEEEvT0_T1_jPSH_T2_SH_
; %bb.0:
	s_load_dwordx2 s[2:3], s[4:5], 0x8
	v_lshl_or_b32 v0, s6, 7, v0
	s_waitcnt lgkmcnt(0)
	v_cmp_gt_u32_e32 vcc, s3, v0
	s_and_saveexec_b64 s[0:1], vcc
	s_cbranch_execz .LBB7_6
; %bb.1:
	s_load_dwordx2 s[0:1], s[4:5], 0x18
	s_waitcnt lgkmcnt(0)
	s_lshr_b32 s3, s1, 9
	s_and_b32 s3, s3, 0x7ffffe
	s_add_i32 s6, s3, -1
	s_sub_i32 s3, 0, s3
	v_and_b32_e32 v1, s3, v0
	v_and_b32_e32 v2, s6, v0
	v_lshlrev_b32_e32 v1, 10, v1
	v_lshlrev_b32_e32 v3, 10, v2
	v_min_u32_e32 v2, s2, v1
	v_add_u32_e32 v1, s1, v1
	v_min_u32_e32 v4, s2, v1
	v_add_u32_e32 v1, s1, v4
	v_min_u32_e32 v1, s2, v1
	v_sub_u32_e32 v5, v1, v2
	v_min_u32_e32 v6, v5, v3
	v_sub_u32_e32 v3, v4, v2
	v_sub_u32_e32 v1, v1, v4
	v_sub_u32_e64 v1, v6, v1 clamp
	v_min_u32_e32 v7, v6, v3
	v_cmp_lt_u32_e32 vcc, v1, v7
	s_and_saveexec_b64 s[2:3], vcc
	s_cbranch_execz .LBB7_5
; %bb.2:
	s_load_dwordx2 s[6:7], s[4:5], 0x0
	v_mov_b32_e32 v5, 0
	v_mov_b32_e32 v3, v5
	v_lshlrev_b64 v[8:9], 1, v[2:3]
	v_lshlrev_b64 v[10:11], 1, v[4:5]
	s_waitcnt lgkmcnt(0)
	v_mov_b32_e32 v12, s7
	v_add_co_u32_e32 v3, vcc, s6, v8
	v_addc_co_u32_e32 v8, vcc, v12, v9, vcc
	v_add_co_u32_e32 v9, vcc, s6, v10
	v_addc_co_u32_e32 v10, vcc, v12, v11, vcc
	s_mov_b64 s[6:7], 0
.LBB7_3:                                ; =>This Inner Loop Header: Depth=1
	v_add_u32_e32 v4, v7, v1
	v_and_b32_e32 v12, -2, v4
	v_lshrrev_b32_e32 v11, 1, v4
	v_add_co_u32_e32 v12, vcc, v3, v12
	v_xad_u32 v4, v11, -1, v6
	v_addc_co_u32_e32 v13, vcc, 0, v8, vcc
	global_load_ushort v14, v[12:13], off
	v_lshlrev_b64 v[12:13], 1, v[4:5]
	v_add_co_u32_e32 v12, vcc, v9, v12
	v_addc_co_u32_e32 v13, vcc, v10, v13, vcc
	global_load_ushort v4, v[12:13], off
	v_add_u32_e32 v12, 1, v11
	s_waitcnt vmcnt(1)
	v_and_b32_e32 v13, s0, v14
	s_waitcnt vmcnt(0)
	v_and_b32_e32 v4, s0, v4
	v_cmp_gt_u16_e32 vcc, v4, v13
	v_cndmask_b32_e32 v7, v7, v11, vcc
	v_cndmask_b32_e32 v1, v12, v1, vcc
	v_cmp_ge_u32_e32 vcc, v1, v7
	s_or_b64 s[6:7], vcc, s[6:7]
	s_andn2_b64 exec, exec, s[6:7]
	s_cbranch_execnz .LBB7_3
; %bb.4:
	s_or_b64 exec, exec, s[6:7]
.LBB7_5:
	s_or_b64 exec, exec, s[2:3]
	s_load_dwordx2 s[0:1], s[4:5], 0x10
	v_add_u32_e32 v2, v1, v2
	v_mov_b32_e32 v1, 0
	v_lshlrev_b64 v[0:1], 2, v[0:1]
	s_waitcnt lgkmcnt(0)
	v_mov_b32_e32 v3, s1
	v_add_co_u32_e32 v0, vcc, s0, v0
	v_addc_co_u32_e32 v1, vcc, v3, v1, vcc
	global_store_dword v[0:1], v2, off
.LBB7_6:
	s_endpgm
	.section	.rodata,"a",@progbits
	.p2align	6, 0x0
	.amdhsa_kernel _ZN7rocprim17ROCPRIM_304000_NS6detail45device_block_merge_mergepath_partition_kernelINS1_37wrapped_merge_sort_block_merge_configINS0_14default_configEtN2at4cuda3cub6detail10OpaqueTypeILi8EEEEEPtjNS1_19radix_merge_compareILb1ELb1EtNS0_19identity_decomposerEEEEEvT0_T1_jPSH_T2_SH_
		.amdhsa_group_segment_fixed_size 0
		.amdhsa_private_segment_fixed_size 0
		.amdhsa_kernarg_size 32
		.amdhsa_user_sgpr_count 6
		.amdhsa_user_sgpr_private_segment_buffer 1
		.amdhsa_user_sgpr_dispatch_ptr 0
		.amdhsa_user_sgpr_queue_ptr 0
		.amdhsa_user_sgpr_kernarg_segment_ptr 1
		.amdhsa_user_sgpr_dispatch_id 0
		.amdhsa_user_sgpr_flat_scratch_init 0
		.amdhsa_user_sgpr_kernarg_preload_length 0
		.amdhsa_user_sgpr_kernarg_preload_offset 0
		.amdhsa_user_sgpr_private_segment_size 0
		.amdhsa_uses_dynamic_stack 0
		.amdhsa_system_sgpr_private_segment_wavefront_offset 0
		.amdhsa_system_sgpr_workgroup_id_x 1
		.amdhsa_system_sgpr_workgroup_id_y 0
		.amdhsa_system_sgpr_workgroup_id_z 0
		.amdhsa_system_sgpr_workgroup_info 0
		.amdhsa_system_vgpr_workitem_id 0
		.amdhsa_next_free_vgpr 15
		.amdhsa_next_free_sgpr 8
		.amdhsa_accum_offset 16
		.amdhsa_reserve_vcc 1
		.amdhsa_reserve_flat_scratch 0
		.amdhsa_float_round_mode_32 0
		.amdhsa_float_round_mode_16_64 0
		.amdhsa_float_denorm_mode_32 3
		.amdhsa_float_denorm_mode_16_64 3
		.amdhsa_dx10_clamp 1
		.amdhsa_ieee_mode 1
		.amdhsa_fp16_overflow 0
		.amdhsa_tg_split 0
		.amdhsa_exception_fp_ieee_invalid_op 0
		.amdhsa_exception_fp_denorm_src 0
		.amdhsa_exception_fp_ieee_div_zero 0
		.amdhsa_exception_fp_ieee_overflow 0
		.amdhsa_exception_fp_ieee_underflow 0
		.amdhsa_exception_fp_ieee_inexact 0
		.amdhsa_exception_int_div_zero 0
	.end_amdhsa_kernel
	.section	.text._ZN7rocprim17ROCPRIM_304000_NS6detail45device_block_merge_mergepath_partition_kernelINS1_37wrapped_merge_sort_block_merge_configINS0_14default_configEtN2at4cuda3cub6detail10OpaqueTypeILi8EEEEEPtjNS1_19radix_merge_compareILb1ELb1EtNS0_19identity_decomposerEEEEEvT0_T1_jPSH_T2_SH_,"axG",@progbits,_ZN7rocprim17ROCPRIM_304000_NS6detail45device_block_merge_mergepath_partition_kernelINS1_37wrapped_merge_sort_block_merge_configINS0_14default_configEtN2at4cuda3cub6detail10OpaqueTypeILi8EEEEEPtjNS1_19radix_merge_compareILb1ELb1EtNS0_19identity_decomposerEEEEEvT0_T1_jPSH_T2_SH_,comdat
.Lfunc_end7:
	.size	_ZN7rocprim17ROCPRIM_304000_NS6detail45device_block_merge_mergepath_partition_kernelINS1_37wrapped_merge_sort_block_merge_configINS0_14default_configEtN2at4cuda3cub6detail10OpaqueTypeILi8EEEEEPtjNS1_19radix_merge_compareILb1ELb1EtNS0_19identity_decomposerEEEEEvT0_T1_jPSH_T2_SH_, .Lfunc_end7-_ZN7rocprim17ROCPRIM_304000_NS6detail45device_block_merge_mergepath_partition_kernelINS1_37wrapped_merge_sort_block_merge_configINS0_14default_configEtN2at4cuda3cub6detail10OpaqueTypeILi8EEEEEPtjNS1_19radix_merge_compareILb1ELb1EtNS0_19identity_decomposerEEEEEvT0_T1_jPSH_T2_SH_
                                        ; -- End function
	.section	.AMDGPU.csdata,"",@progbits
; Kernel info:
; codeLenInByte = 368
; NumSgprs: 12
; NumVgprs: 15
; NumAgprs: 0
; TotalNumVgprs: 15
; ScratchSize: 0
; MemoryBound: 0
; FloatMode: 240
; IeeeMode: 1
; LDSByteSize: 0 bytes/workgroup (compile time only)
; SGPRBlocks: 1
; VGPRBlocks: 1
; NumSGPRsForWavesPerEU: 12
; NumVGPRsForWavesPerEU: 15
; AccumOffset: 16
; Occupancy: 8
; WaveLimiterHint : 0
; COMPUTE_PGM_RSRC2:SCRATCH_EN: 0
; COMPUTE_PGM_RSRC2:USER_SGPR: 6
; COMPUTE_PGM_RSRC2:TRAP_HANDLER: 0
; COMPUTE_PGM_RSRC2:TGID_X_EN: 1
; COMPUTE_PGM_RSRC2:TGID_Y_EN: 0
; COMPUTE_PGM_RSRC2:TGID_Z_EN: 0
; COMPUTE_PGM_RSRC2:TIDIG_COMP_CNT: 0
; COMPUTE_PGM_RSRC3_GFX90A:ACCUM_OFFSET: 3
; COMPUTE_PGM_RSRC3_GFX90A:TG_SPLIT: 0
	.section	.text._ZN7rocprim17ROCPRIM_304000_NS6detail35device_block_merge_mergepath_kernelINS1_37wrapped_merge_sort_block_merge_configINS0_14default_configEtN2at4cuda3cub6detail10OpaqueTypeILi8EEEEEPtSC_PSA_SD_jNS1_19radix_merge_compareILb1ELb1EtNS0_19identity_decomposerEEEEEvT0_T1_T2_T3_T4_SL_jT5_PKSL_NS1_7vsmem_tE,"axG",@progbits,_ZN7rocprim17ROCPRIM_304000_NS6detail35device_block_merge_mergepath_kernelINS1_37wrapped_merge_sort_block_merge_configINS0_14default_configEtN2at4cuda3cub6detail10OpaqueTypeILi8EEEEEPtSC_PSA_SD_jNS1_19radix_merge_compareILb1ELb1EtNS0_19identity_decomposerEEEEEvT0_T1_T2_T3_T4_SL_jT5_PKSL_NS1_7vsmem_tE,comdat
	.protected	_ZN7rocprim17ROCPRIM_304000_NS6detail35device_block_merge_mergepath_kernelINS1_37wrapped_merge_sort_block_merge_configINS0_14default_configEtN2at4cuda3cub6detail10OpaqueTypeILi8EEEEEPtSC_PSA_SD_jNS1_19radix_merge_compareILb1ELb1EtNS0_19identity_decomposerEEEEEvT0_T1_T2_T3_T4_SL_jT5_PKSL_NS1_7vsmem_tE ; -- Begin function _ZN7rocprim17ROCPRIM_304000_NS6detail35device_block_merge_mergepath_kernelINS1_37wrapped_merge_sort_block_merge_configINS0_14default_configEtN2at4cuda3cub6detail10OpaqueTypeILi8EEEEEPtSC_PSA_SD_jNS1_19radix_merge_compareILb1ELb1EtNS0_19identity_decomposerEEEEEvT0_T1_T2_T3_T4_SL_jT5_PKSL_NS1_7vsmem_tE
	.globl	_ZN7rocprim17ROCPRIM_304000_NS6detail35device_block_merge_mergepath_kernelINS1_37wrapped_merge_sort_block_merge_configINS0_14default_configEtN2at4cuda3cub6detail10OpaqueTypeILi8EEEEEPtSC_PSA_SD_jNS1_19radix_merge_compareILb1ELb1EtNS0_19identity_decomposerEEEEEvT0_T1_T2_T3_T4_SL_jT5_PKSL_NS1_7vsmem_tE
	.p2align	8
	.type	_ZN7rocprim17ROCPRIM_304000_NS6detail35device_block_merge_mergepath_kernelINS1_37wrapped_merge_sort_block_merge_configINS0_14default_configEtN2at4cuda3cub6detail10OpaqueTypeILi8EEEEEPtSC_PSA_SD_jNS1_19radix_merge_compareILb1ELb1EtNS0_19identity_decomposerEEEEEvT0_T1_T2_T3_T4_SL_jT5_PKSL_NS1_7vsmem_tE,@function
_ZN7rocprim17ROCPRIM_304000_NS6detail35device_block_merge_mergepath_kernelINS1_37wrapped_merge_sort_block_merge_configINS0_14default_configEtN2at4cuda3cub6detail10OpaqueTypeILi8EEEEEPtSC_PSA_SD_jNS1_19radix_merge_compareILb1ELb1EtNS0_19identity_decomposerEEEEEvT0_T1_T2_T3_T4_SL_jT5_PKSL_NS1_7vsmem_tE: ; @_ZN7rocprim17ROCPRIM_304000_NS6detail35device_block_merge_mergepath_kernelINS1_37wrapped_merge_sort_block_merge_configINS0_14default_configEtN2at4cuda3cub6detail10OpaqueTypeILi8EEEEEPtSC_PSA_SD_jNS1_19radix_merge_compareILb1ELb1EtNS0_19identity_decomposerEEEEEvT0_T1_T2_T3_T4_SL_jT5_PKSL_NS1_7vsmem_tE
; %bb.0:
	s_load_dwordx2 s[26:27], s[4:5], 0x40
	s_load_dwordx4 s[16:19], s[4:5], 0x20
	s_add_u32 s2, s4, 64
	s_addc_u32 s3, s5, 0
	s_waitcnt lgkmcnt(0)
	s_mul_i32 s0, s27, s8
	s_add_i32 s0, s0, s7
	s_mul_i32 s0, s0, s26
	s_add_i32 s0, s0, s6
	s_cmp_ge_u32 s0, s18
	s_cbranch_scc1 .LBB8_69
; %bb.1:
	s_load_dwordx8 s[8:15], s[4:5], 0x0
	s_load_dwordx2 s[22:23], s[4:5], 0x30
	s_lshr_b32 s30, s16, 10
	s_cmp_lg_u32 s0, s30
	s_mov_b32 s1, 0
	s_cselect_b64 s[20:21], -1, 0
	s_lshl_b64 s[4:5], s[0:1], 2
	s_waitcnt lgkmcnt(0)
	s_add_u32 s4, s22, s4
	s_addc_u32 s5, s23, s5
	s_load_dwordx2 s[22:23], s[4:5], 0x0
	s_lshr_b32 s4, s17, 9
	s_and_b32 s4, s4, 0x7ffffe
	s_sub_i32 s4, 0, s4
	s_and_b32 s5, s0, s4
	s_lshl_b32 s7, s5, 10
	s_lshl_b32 s18, s0, 10
	;; [unrolled: 1-line block ×3, first 2 shown]
	s_sub_i32 s24, s18, s7
	s_add_i32 s5, s5, s17
	s_add_i32 s25, s5, s24
	s_waitcnt lgkmcnt(0)
	s_sub_i32 s24, s25, s22
	s_sub_i32 s25, s25, s23
	;; [unrolled: 1-line block ×3, first 2 shown]
	s_min_u32 s24, s16, s24
	s_addk_i32 s25, 0x400
	s_or_b32 s4, s0, s4
	s_min_u32 s7, s16, s5
	s_add_i32 s5, s5, s17
	s_cmp_eq_u32 s4, -1
	s_cselect_b32 s4, s5, s25
	s_cselect_b32 s5, s7, s23
	s_min_u32 s4, s4, s16
	s_mov_b32 s23, s1
	s_sub_i32 s27, s5, s22
	s_sub_i32 s28, s4, s24
	s_lshl_b64 s[4:5], s[22:23], 1
	s_add_u32 s7, s8, s4
	s_mov_b32 s25, s1
	s_addc_u32 s29, s9, s5
	s_lshl_b64 s[4:5], s[24:25], 1
	s_add_u32 s4, s8, s4
	s_addc_u32 s5, s9, s5
	s_cmp_lt_u32 s6, s26
	v_mov_b32_e32 v3, 0
	s_cselect_b32 s1, 12, 18
	global_load_dword v1, v3, s[2:3] offset:14
	s_add_u32 s2, s2, s1
	s_addc_u32 s3, s3, 0
	global_load_ushort v2, v3, s[2:3]
	v_cmp_gt_u32_e32 vcc, s27, v0
	s_cmp_eq_u32 s0, s30
	s_waitcnt vmcnt(1)
	v_lshrrev_b32_e32 v4, 16, v1
	v_and_b32_e32 v1, 0xffff, v1
	v_mul_lo_u32 v1, v1, v4
	s_waitcnt vmcnt(0)
	v_mul_lo_u32 v8, v1, v2
	v_add_u32_e32 v6, v8, v0
	v_lshlrev_b32_e32 v1, 1, v0
	v_add_u32_e32 v4, v6, v8
	s_cbranch_scc1 .LBB8_3
; %bb.2:
	v_mov_b32_e32 v2, s29
	v_add_co_u32_e64 v5, s[0:1], s7, v1
	v_addc_co_u32_e64 v7, s[0:1], 0, v2, s[0:1]
	v_subrev_u32_e32 v2, s27, v0
	v_lshlrev_b64 v[10:11], 1, v[2:3]
	v_mov_b32_e32 v2, s5
	v_add_co_u32_e64 v9, s[0:1], s4, v10
	v_addc_co_u32_e64 v2, s[0:1], v2, v11, s[0:1]
	v_cndmask_b32_e32 v11, v2, v7, vcc
	v_cndmask_b32_e32 v10, v9, v5, vcc
	v_mov_b32_e32 v7, v3
	global_load_ushort v9, v[10:11], off
	v_lshlrev_b64 v[10:11], 1, v[6:7]
	v_mov_b32_e32 v2, s29
	v_add_co_u32_e32 v5, vcc, s7, v10
	v_addc_co_u32_e32 v7, vcc, v2, v11, vcc
	v_subrev_u32_e32 v2, s27, v6
	v_lshlrev_b64 v[10:11], 1, v[2:3]
	v_mov_b32_e32 v2, s5
	v_add_co_u32_e32 v10, vcc, s4, v10
	v_addc_co_u32_e32 v2, vcc, v2, v11, vcc
	v_cmp_gt_u32_e32 vcc, s27, v6
	v_cndmask_b32_e32 v11, v2, v7, vcc
	v_cndmask_b32_e32 v10, v10, v5, vcc
	v_mov_b32_e32 v5, v3
	global_load_ushort v7, v[10:11], off
	v_lshlrev_b64 v[10:11], 1, v[4:5]
	v_mov_b32_e32 v2, s29
	v_add_co_u32_e32 v5, vcc, s7, v10
	v_addc_co_u32_e32 v12, vcc, v2, v11, vcc
	v_subrev_u32_e32 v2, s27, v4
	v_lshlrev_b64 v[10:11], 1, v[2:3]
	v_mov_b32_e32 v2, s5
	v_add_co_u32_e32 v10, vcc, s4, v10
	v_addc_co_u32_e32 v2, vcc, v2, v11, vcc
	v_cmp_gt_u32_e32 vcc, s27, v4
	v_cndmask_b32_e32 v11, v2, v12, vcc
	v_cndmask_b32_e32 v10, v10, v5, vcc
	v_add_u32_e32 v2, v4, v8
	global_load_ushort v5, v[10:11], off
	v_lshlrev_b64 v[10:11], 1, v[2:3]
	v_mov_b32_e32 v12, s29
	v_add_co_u32_e32 v10, vcc, s7, v10
	v_addc_co_u32_e32 v11, vcc, v12, v11, vcc
	v_cmp_gt_u32_e32 vcc, s27, v2
	v_subrev_u32_e32 v2, s27, v2
	v_lshlrev_b64 v[2:3], 1, v[2:3]
	v_mov_b32_e32 v12, s5
	v_add_co_u32_e64 v2, s[0:1], s4, v2
	v_addc_co_u32_e64 v3, s[0:1], v12, v3, s[0:1]
	v_cndmask_b32_e32 v3, v3, v11, vcc
	v_cndmask_b32_e32 v2, v2, v10, vcc
	global_load_ushort v3, v[2:3], off
	s_mov_b32 s0, 0x5040100
	s_add_i32 s17, s28, s27
	s_waitcnt vmcnt(2)
	v_perm_b32 v2, v7, v9, s0
	s_waitcnt vmcnt(0)
	v_perm_b32 v3, v3, v5, s0
	s_cbranch_execz .LBB8_4
	s_branch .LBB8_11
.LBB8_3:
                                        ; implicit-def: $vgpr2_vgpr3
                                        ; implicit-def: $sgpr17
.LBB8_4:
	s_add_i32 s17, s28, s27
	v_cmp_gt_u32_e32 vcc, s17, v0
                                        ; implicit-def: $vgpr2_vgpr3
	s_and_saveexec_b64 s[0:1], vcc
	s_cbranch_execnz .LBB8_70
; %bb.5:
	s_or_b64 exec, exec, s[0:1]
	v_cmp_gt_u32_e32 vcc, s17, v6
	s_and_saveexec_b64 s[2:3], vcc
	s_cbranch_execnz .LBB8_71
.LBB8_6:
	s_or_b64 exec, exec, s[2:3]
	v_cmp_gt_u32_e32 vcc, s17, v4
	s_and_saveexec_b64 s[0:1], vcc
	s_cbranch_execz .LBB8_8
.LBB8_7:
	v_mov_b32_e32 v5, 0
	v_lshlrev_b64 v[6:7], 1, v[4:5]
	v_mov_b32_e32 v9, s29
	v_add_co_u32_e32 v10, vcc, s7, v6
	v_addc_co_u32_e32 v9, vcc, v9, v7, vcc
	v_subrev_u32_e32 v6, s27, v4
	v_mov_b32_e32 v7, v5
	v_lshlrev_b64 v[6:7], 1, v[6:7]
	v_mov_b32_e32 v5, s5
	v_add_co_u32_e32 v6, vcc, s4, v6
	v_addc_co_u32_e32 v5, vcc, v5, v7, vcc
	v_cmp_gt_u32_e32 vcc, s27, v4
	v_cndmask_b32_e32 v7, v5, v9, vcc
	v_cndmask_b32_e32 v6, v6, v10, vcc
	global_load_ushort v5, v[6:7], off
	s_mov_b32 s2, 0xffff
	s_waitcnt vmcnt(0)
	v_bfi_b32 v3, s2, v5, v3
.LBB8_8:
	s_or_b64 exec, exec, s[0:1]
	v_add_u32_e32 v4, v4, v8
	v_cmp_gt_u32_e32 vcc, s17, v4
	s_and_saveexec_b64 s[2:3], vcc
	s_cbranch_execz .LBB8_10
; %bb.9:
	v_mov_b32_e32 v5, 0
	v_lshlrev_b64 v[6:7], 1, v[4:5]
	v_mov_b32_e32 v8, s29
	v_add_co_u32_e32 v6, vcc, s7, v6
	v_addc_co_u32_e32 v7, vcc, v8, v7, vcc
	v_cmp_gt_u32_e32 vcc, s27, v4
	v_subrev_u32_e32 v4, s27, v4
	v_lshlrev_b64 v[4:5], 1, v[4:5]
	v_mov_b32_e32 v8, s5
	v_add_co_u32_e64 v4, s[0:1], s4, v4
	v_addc_co_u32_e64 v5, s[0:1], v8, v5, s[0:1]
	v_cndmask_b32_e32 v5, v5, v7, vcc
	v_cndmask_b32_e32 v4, v4, v6, vcc
	global_load_ushort v4, v[4:5], off
	s_mov_b32 s0, 0x5040100
	s_waitcnt vmcnt(0)
	v_perm_b32 v3, v4, v3, s0
.LBB8_10:
	s_or_b64 exec, exec, s[2:3]
.LBB8_11:
	v_lshlrev_b32_e32 v8, 2, v0
	v_min_u32_e32 v5, s17, v8
	v_sub_u32_e64 v4, v5, s28 clamp
	v_min_u32_e32 v6, s27, v5
	v_cmp_lt_u32_e32 vcc, v4, v6
	s_waitcnt vmcnt(0)
	ds_write_b16 v1, v2
	ds_write_b16_d16_hi v1, v2 offset:512
	ds_write_b16 v1, v3 offset:1024
	ds_write_b16_d16_hi v1, v3 offset:1536
	s_waitcnt lgkmcnt(0)
	s_barrier
	s_and_saveexec_b64 s[0:1], vcc
	s_cbranch_execz .LBB8_15
; %bb.12:
	v_lshlrev_b32_e32 v7, 1, v5
	v_lshl_add_u32 v7, s27, 1, v7
	s_mov_b64 s[2:3], 0
.LBB8_13:                               ; =>This Inner Loop Header: Depth=1
	v_add_u32_e32 v9, v6, v4
	v_lshrrev_b32_e32 v10, 1, v9
	v_not_b32_e32 v11, v10
	v_and_b32_e32 v9, -2, v9
	v_lshl_add_u32 v11, v11, 1, v7
	ds_read_u16 v9, v9
	ds_read_u16 v11, v11
	v_add_u32_e32 v12, 1, v10
	s_waitcnt lgkmcnt(1)
	v_and_b32_e32 v9, s19, v9
	s_waitcnt lgkmcnt(0)
	v_and_b32_e32 v11, s19, v11
	v_cmp_gt_u16_e32 vcc, v11, v9
	v_cndmask_b32_e32 v6, v6, v10, vcc
	v_cndmask_b32_e32 v4, v12, v4, vcc
	v_cmp_ge_u32_e32 vcc, v4, v6
	s_or_b64 s[2:3], vcc, s[2:3]
	s_andn2_b64 exec, exec, s[2:3]
	s_cbranch_execnz .LBB8_13
; %bb.14:
	s_or_b64 exec, exec, s[2:3]
.LBB8_15:
	s_or_b64 exec, exec, s[0:1]
	v_sub_u32_e32 v5, v5, v4
	v_add_u32_e32 v5, s27, v5
	v_cmp_ge_u32_e32 vcc, s27, v4
	v_cmp_ge_u32_e64 s[0:1], s17, v5
	s_or_b64 s[0:1], vcc, s[0:1]
                                        ; implicit-def: $vgpr9
                                        ; implicit-def: $vgpr10
                                        ; implicit-def: $vgpr11
                                        ; implicit-def: $vgpr12
	s_and_saveexec_b64 s[8:9], s[0:1]
	s_cbranch_execz .LBB8_21
; %bb.16:
	v_cmp_gt_u32_e32 vcc, s27, v4
                                        ; implicit-def: $vgpr2
	s_and_saveexec_b64 s[0:1], vcc
	s_cbranch_execz .LBB8_18
; %bb.17:
	v_lshlrev_b32_e32 v2, 1, v4
	ds_read_u16 v2, v2
.LBB8_18:
	s_or_b64 exec, exec, s[0:1]
	v_cmp_le_u32_e64 s[0:1], s17, v5
	v_cmp_gt_u32_e64 s[2:3], s17, v5
                                        ; implicit-def: $vgpr3
	s_and_saveexec_b64 s[4:5], s[2:3]
	s_cbranch_execz .LBB8_20
; %bb.19:
	v_lshlrev_b32_e32 v3, 1, v5
	ds_read_u16 v3, v3
.LBB8_20:
	s_or_b64 exec, exec, s[4:5]
	s_waitcnt lgkmcnt(0)
	v_and_b32_e32 v6, s19, v3
	v_and_b32_e32 v7, s19, v2
	v_cmp_le_u16_e64 s[2:3], v6, v7
	s_and_b64 s[2:3], vcc, s[2:3]
	s_or_b64 vcc, s[0:1], s[2:3]
	v_mov_b32_e32 v6, s17
	v_mov_b32_e32 v7, s27
	v_cndmask_b32_e32 v12, v5, v4, vcc
	v_cndmask_b32_e32 v9, v6, v7, vcc
	v_add_u32_e32 v10, 1, v12
	v_add_u32_e32 v9, -1, v9
	v_min_u32_e32 v9, v10, v9
	v_lshlrev_b32_e32 v9, 1, v9
	ds_read_u16 v9, v9
	v_cndmask_b32_e32 v5, v10, v5, vcc
	v_cndmask_b32_e32 v4, v4, v10, vcc
	v_cmp_gt_u32_e64 s[2:3], s27, v4
	v_cmp_le_u32_e64 s[0:1], s17, v5
	s_waitcnt lgkmcnt(0)
	v_cndmask_b32_e32 v13, v9, v3, vcc
	v_cndmask_b32_e32 v9, v2, v9, vcc
	v_and_b32_e32 v10, s19, v13
	v_and_b32_e32 v11, s19, v9
	v_cmp_le_u16_e64 s[4:5], v10, v11
	s_and_b64 s[2:3], s[2:3], s[4:5]
	s_or_b64 s[0:1], s[0:1], s[2:3]
	v_cndmask_b32_e64 v11, v5, v4, s[0:1]
	v_cndmask_b32_e64 v10, v6, v7, s[0:1]
	v_add_u32_e32 v14, 1, v11
	v_add_u32_e32 v10, -1, v10
	v_min_u32_e32 v10, v14, v10
	v_lshlrev_b32_e32 v10, 1, v10
	ds_read_u16 v10, v10
	v_cndmask_b32_e64 v5, v14, v5, s[0:1]
	v_cndmask_b32_e64 v4, v4, v14, s[0:1]
	v_cmp_gt_u32_e64 s[4:5], s27, v4
	v_cmp_le_u32_e64 s[2:3], s17, v5
	s_waitcnt lgkmcnt(0)
	v_cndmask_b32_e64 v15, v10, v13, s[0:1]
	v_cndmask_b32_e64 v16, v9, v10, s[0:1]
	v_and_b32_e32 v10, s19, v15
	v_and_b32_e32 v14, s19, v16
	v_cmp_le_u16_e64 s[6:7], v10, v14
	s_and_b64 s[4:5], s[4:5], s[6:7]
	s_or_b64 s[2:3], s[2:3], s[4:5]
	v_cndmask_b32_e64 v10, v5, v4, s[2:3]
	v_cndmask_b32_e64 v6, v6, v7, s[2:3]
	v_add_u32_e32 v7, 1, v10
	v_add_u32_e32 v6, -1, v6
	v_min_u32_e32 v6, v7, v6
	v_lshlrev_b32_e32 v6, 1, v6
	ds_read_u16 v6, v6
	v_cndmask_b32_e64 v13, v13, v9, s[0:1]
	v_cndmask_b32_e64 v5, v7, v5, s[2:3]
	;; [unrolled: 1-line block ×3, first 2 shown]
	v_cndmask_b32_e32 v2, v3, v2, vcc
	s_waitcnt lgkmcnt(0)
	v_cndmask_b32_e64 v14, v6, v15, s[2:3]
	v_cndmask_b32_e64 v6, v16, v6, s[2:3]
	v_and_b32_e32 v7, s19, v14
	v_and_b32_e32 v9, s19, v6
	v_cndmask_b32_e64 v3, v15, v16, s[2:3]
	v_cmp_gt_u32_e64 s[0:1], s27, v4
	v_cmp_le_u16_e64 s[2:3], v7, v9
	v_cmp_le_u32_e32 vcc, s17, v5
	s_and_b64 s[0:1], s[0:1], s[2:3]
	s_or_b64 vcc, vcc, s[0:1]
	v_cndmask_b32_e32 v9, v5, v4, vcc
	v_cndmask_b32_e32 v4, v14, v6, vcc
	s_mov_b32 s0, 0x5040100
	v_perm_b32 v3, v4, v3, s0
	v_perm_b32 v2, v13, v2, s0
.LBB8_21:
	s_or_b64 exec, exec, s[8:9]
	s_lshl_b64 s[0:1], s[22:23], 3
	s_add_u32 s19, s12, s0
	s_addc_u32 s26, s13, s1
	s_lshl_b64 s[0:1], s[24:25], 3
	s_add_u32 s29, s12, s0
	v_cndmask_b32_e64 v4, 0, 1, s[20:21]
	s_addc_u32 s30, s13, s1
	v_cmp_gt_u32_e64 s[4:5], s27, v0
	v_cmp_ne_u32_e64 s[0:1], 1, v4
	s_andn2_b64 vcc, exec, s[20:21]
	v_cmp_le_u32_e64 s[2:3], s27, v0
	s_barrier
	s_cbranch_vccnz .LBB8_23
; %bb.22:
	v_subrev_u32_e32 v4, s27, v0
	v_mov_b32_e32 v5, 0
	v_lshlrev_b64 v[6:7], 3, v[4:5]
	v_mov_b32_e32 v4, s30
	v_add_co_u32_e32 v6, vcc, s29, v6
	v_addc_co_u32_e32 v4, vcc, v4, v7, vcc
	v_lshlrev_b32_e32 v18, 3, v0
	v_mov_b32_e32 v7, s26
	v_add_co_u32_e32 v19, vcc, s19, v18
	v_addc_co_u32_e32 v20, vcc, 0, v7, vcc
	v_cndmask_b32_e64 v7, v4, v20, s[4:5]
	v_cndmask_b32_e64 v6, v6, v19, s[4:5]
	v_or_b32_e32 v13, 0x100, v0
	s_movk_i32 s4, 0x800
	v_add_co_u32_e32 v16, vcc, s4, v19
	v_subrev_u32_e32 v4, s27, v13
	v_addc_co_u32_e32 v17, vcc, 0, v20, vcc
	v_lshlrev_b64 v[14:15], 3, v[4:5]
	v_mov_b32_e32 v4, s30
	v_add_co_u32_e32 v14, vcc, s29, v14
	v_addc_co_u32_e32 v4, vcc, v4, v15, vcc
	v_cmp_gt_u32_e32 vcc, s27, v13
	v_or_b32_e32 v13, 0x200, v0
	s_movk_i32 s4, 0x1000
	v_cndmask_b32_e32 v15, v4, v17, vcc
	v_cndmask_b32_e32 v14, v14, v16, vcc
	v_add_co_u32_e32 v21, vcc, s4, v19
	v_subrev_u32_e32 v4, s27, v13
	v_addc_co_u32_e32 v22, vcc, 0, v20, vcc
	v_lshlrev_b64 v[16:17], 3, v[4:5]
	v_mov_b32_e32 v4, s30
	v_add_co_u32_e32 v16, vcc, s29, v16
	v_addc_co_u32_e32 v4, vcc, v4, v17, vcc
	v_cmp_gt_u32_e32 vcc, s27, v13
	global_load_dwordx2 v[6:7], v[6:7], off
	v_cndmask_b32_e32 v17, v4, v22, vcc
	global_load_dwordx2 v[14:15], v[14:15], off
	v_cndmask_b32_e32 v16, v16, v21, vcc
	global_load_dwordx2 v[16:17], v[16:17], off
	v_or_b32_e32 v21, 0x300, v0
	s_movk_i32 s4, 0x1800
	v_add_co_u32_e32 v19, vcc, s4, v19
	v_subrev_u32_e32 v4, s27, v21
	v_addc_co_u32_e32 v20, vcc, 0, v20, vcc
	v_lshlrev_b64 v[4:5], 3, v[4:5]
	v_mov_b32_e32 v22, s30
	v_add_co_u32_e32 v4, vcc, s29, v4
	v_addc_co_u32_e32 v5, vcc, v22, v5, vcc
	v_cmp_gt_u32_e32 vcc, s27, v21
	v_or_b32_e32 v13, 0x1800, v18
	v_cndmask_b32_e32 v5, v5, v20, vcc
	v_cndmask_b32_e32 v4, v4, v19, vcc
	s_mov_b64 s[4:5], -1
	s_waitcnt vmcnt(1)
	ds_write2st64_b64 v18, v[6:7], v[14:15] offset1:4
	s_waitcnt vmcnt(0)
	ds_write_b64 v18, v[16:17] offset:4096
	s_cbranch_execz .LBB8_24
	s_branch .LBB8_43
.LBB8_23:
	s_mov_b64 s[4:5], 0
                                        ; implicit-def: $vgpr13
                                        ; implicit-def: $vgpr4_vgpr5
.LBB8_24:
	s_mov_b64 s[6:7], 0
                                        ; implicit-def: $vgpr4_vgpr5
	s_and_saveexec_b64 s[8:9], s[2:3]
	s_xor_b64 s[2:3], exec, s[8:9]
	s_cbranch_execnz .LBB8_72
; %bb.25:
	s_andn2_saveexec_b64 s[2:3], s[2:3]
	s_cbranch_execnz .LBB8_75
.LBB8_26:
	s_or_b64 exec, exec, s[2:3]
	v_mad_u32_u24 v13, v0, 6, v1
	s_and_saveexec_b64 s[2:3], s[6:7]
	s_cbranch_execz .LBB8_28
.LBB8_27:
	global_load_dwordx2 v[4:5], v[4:5], off
	s_waitcnt vmcnt(0)
	ds_write_b64 v13, v[4:5]
.LBB8_28:
	s_or_b64 exec, exec, s[2:3]
	v_or_b32_e32 v4, 0x100, v0
	v_cmp_le_u32_e32 vcc, s27, v4
	s_mov_b64 s[6:7], -1
	v_pk_mov_b32 v[6:7], s[22:23], s[22:23] op_sel:[0,1]
	s_and_saveexec_b64 s[2:3], vcc
; %bb.29:
	v_subrev_u32_e32 v4, s27, v4
	v_cmp_gt_u32_e32 vcc, s28, v4
	v_pk_mov_b32 v[6:7], s[24:25], s[24:25] op_sel:[0,1]
	s_orn2_b64 s[6:7], vcc, exec
; %bb.30:
	s_or_b64 exec, exec, s[2:3]
	s_and_saveexec_b64 s[2:3], s[6:7]
	s_cbranch_execz .LBB8_32
; %bb.31:
	v_lshlrev_b64 v[6:7], 3, v[6:7]
	v_mov_b32_e32 v5, s13
	v_add_co_u32_e32 v6, vcc, s12, v6
	v_addc_co_u32_e32 v7, vcc, v5, v7, vcc
	v_mov_b32_e32 v5, 0
	v_lshlrev_b64 v[4:5], 3, v[4:5]
	v_add_co_u32_e32 v4, vcc, v6, v4
	v_addc_co_u32_e32 v5, vcc, v7, v5, vcc
	global_load_dwordx2 v[4:5], v[4:5], off
	s_waitcnt vmcnt(0)
	ds_write_b64 v13, v[4:5] offset:2048
.LBB8_32:
	s_or_b64 exec, exec, s[2:3]
	v_or_b32_e32 v4, 0x200, v0
	v_cmp_le_u32_e32 vcc, s27, v4
	s_mov_b64 s[6:7], -1
	v_pk_mov_b32 v[6:7], s[22:23], s[22:23] op_sel:[0,1]
	s_and_saveexec_b64 s[2:3], vcc
; %bb.33:
	v_subrev_u32_e32 v4, s27, v4
	v_cmp_gt_u32_e32 vcc, s28, v4
	v_pk_mov_b32 v[6:7], s[24:25], s[24:25] op_sel:[0,1]
	s_orn2_b64 s[6:7], vcc, exec
; %bb.34:
	s_or_b64 exec, exec, s[2:3]
	s_and_saveexec_b64 s[2:3], s[6:7]
	s_cbranch_execz .LBB8_36
; %bb.35:
	v_lshlrev_b64 v[6:7], 3, v[6:7]
	v_mov_b32_e32 v5, s13
	v_add_co_u32_e32 v6, vcc, s12, v6
	v_addc_co_u32_e32 v7, vcc, v5, v7, vcc
	v_mov_b32_e32 v5, 0
	v_lshlrev_b64 v[4:5], 3, v[4:5]
	v_add_co_u32_e32 v4, vcc, v6, v4
	v_addc_co_u32_e32 v5, vcc, v7, v5, vcc
	global_load_dwordx2 v[4:5], v[4:5], off
	s_waitcnt vmcnt(0)
	ds_write_b64 v13, v[4:5] offset:4096
.LBB8_36:
	s_or_b64 exec, exec, s[2:3]
	v_or_b32_e32 v6, 0x300, v0
	v_cmp_le_u32_e32 vcc, s27, v6
                                        ; implicit-def: $vgpr13
                                        ; implicit-def: $vgpr4_vgpr5
	s_and_saveexec_b64 s[2:3], vcc
	s_xor_b64 s[2:3], exec, s[2:3]
	s_cbranch_execz .LBB8_40
; %bb.37:
	v_subrev_u32_e32 v6, s27, v6
	v_cmp_gt_u32_e32 vcc, s28, v6
	s_mov_b64 s[8:9], s[4:5]
                                        ; implicit-def: $vgpr13
                                        ; implicit-def: $vgpr4_vgpr5
	s_and_saveexec_b64 s[6:7], vcc
; %bb.38:
	v_mul_u32_u24_e32 v4, 6, v0
	s_movk_i32 s8, 0x1800
	v_mov_b32_e32 v7, 0
	v_add3_u32 v13, v1, v4, s8
	v_lshlrev_b64 v[4:5], 3, v[6:7]
	v_mov_b32_e32 v6, s30
	v_add_co_u32_e32 v4, vcc, s29, v4
	v_addc_co_u32_e32 v5, vcc, v6, v5, vcc
	s_or_b64 s[8:9], s[4:5], exec
; %bb.39:
	s_or_b64 exec, exec, s[6:7]
	s_andn2_b64 s[4:5], s[4:5], exec
	s_and_b64 s[6:7], s[8:9], exec
	s_or_b64 s[4:5], s[4:5], s[6:7]
                                        ; implicit-def: $vgpr6
.LBB8_40:
	s_andn2_saveexec_b64 s[2:3], s[2:3]
; %bb.41:
	v_lshlrev_b32_e32 v4, 3, v6
	v_mov_b32_e32 v5, s26
	v_add_co_u32_e32 v4, vcc, s19, v4
	v_mul_u32_u24_e32 v6, 6, v0
	s_movk_i32 s6, 0x1800
	v_addc_co_u32_e32 v5, vcc, 0, v5, vcc
	v_add3_u32 v13, v1, v6, s6
	s_or_b64 s[4:5], s[4:5], exec
; %bb.42:
	s_or_b64 exec, exec, s[2:3]
.LBB8_43:
	s_and_saveexec_b64 s[2:3], s[4:5]
	s_cbranch_execz .LBB8_45
; %bb.44:
	global_load_dwordx2 v[4:5], v[4:5], off
	s_waitcnt vmcnt(0)
	ds_write_b64 v13, v[4:5]
.LBB8_45:
	s_or_b64 exec, exec, s[2:3]
	s_and_b64 vcc, exec, s[0:1]
	v_add_u32_e32 v4, s18, v8
	s_waitcnt lgkmcnt(0)
	s_barrier
	s_cbranch_vccnz .LBB8_47
; %bb.46:
	v_lshlrev_b32_e32 v13, 3, v12
	v_lshlrev_b32_e32 v16, 3, v11
	;; [unrolled: 1-line block ×3, first 2 shown]
	ds_read_b64 v[14:15], v13
	ds_read_b64 v[16:17], v16
	;; [unrolled: 1-line block ×3, first 2 shown]
	v_mov_b32_e32 v5, 0
	v_lshlrev_b64 v[6:7], 3, v[4:5]
	v_mov_b32_e32 v20, s15
	v_add_co_u32_e32 v6, vcc, s14, v6
	v_addc_co_u32_e32 v7, vcc, v20, v7, vcc
	s_mov_b64 s[0:1], -1
	s_waitcnt lgkmcnt(1)
	global_store_dwordx4 v[6:7], v[14:17], off
	s_waitcnt lgkmcnt(0)
	global_store_dwordx2 v[6:7], v[18:19], off offset:16
	s_cbranch_execz .LBB8_48
	s_branch .LBB8_57
.LBB8_47:
	s_mov_b64 s[0:1], 0
.LBB8_48:
	v_cmp_gt_u32_e32 vcc, s17, v8
	s_and_saveexec_b64 s[2:3], vcc
	s_cbranch_execz .LBB8_50
; %bb.49:
	v_lshlrev_b32_e32 v12, 3, v12
	ds_read_b64 v[12:13], v12
	v_mov_b32_e32 v5, 0
	v_lshlrev_b64 v[6:7], 3, v[4:5]
	v_mov_b32_e32 v5, s15
	v_add_co_u32_e32 v6, vcc, s14, v6
	v_addc_co_u32_e32 v7, vcc, v5, v7, vcc
	s_waitcnt lgkmcnt(0)
	global_store_dwordx2 v[6:7], v[12:13], off
.LBB8_50:
	s_or_b64 exec, exec, s[2:3]
	v_or_b32_e32 v5, 1, v8
	v_cmp_gt_u32_e32 vcc, s17, v5
	s_and_saveexec_b64 s[2:3], vcc
	s_cbranch_execz .LBB8_52
; %bb.51:
	v_lshlrev_b32_e32 v11, 3, v11
	ds_read_b64 v[12:13], v11
	v_mov_b32_e32 v5, 0
	v_lshlrev_b64 v[6:7], 3, v[4:5]
	v_mov_b32_e32 v5, s15
	v_add_co_u32_e32 v6, vcc, s14, v6
	v_addc_co_u32_e32 v7, vcc, v5, v7, vcc
	s_waitcnt lgkmcnt(0)
	global_store_dwordx2 v[6:7], v[12:13], off offset:8
.LBB8_52:
	s_or_b64 exec, exec, s[2:3]
	v_or_b32_e32 v5, 2, v8
	v_cmp_gt_u32_e32 vcc, s17, v5
	s_and_saveexec_b64 s[2:3], vcc
	s_cbranch_execz .LBB8_54
; %bb.53:
	v_lshlrev_b32_e32 v10, 3, v10
	ds_read_b64 v[10:11], v10
	v_mov_b32_e32 v5, 0
	v_lshlrev_b64 v[6:7], 3, v[4:5]
	v_mov_b32_e32 v5, s15
	v_add_co_u32_e32 v6, vcc, s14, v6
	v_addc_co_u32_e32 v7, vcc, v5, v7, vcc
	s_waitcnt lgkmcnt(0)
	global_store_dwordx2 v[6:7], v[10:11], off offset:16
.LBB8_54:
	s_or_b64 exec, exec, s[2:3]
	v_or_b32_e32 v5, 3, v8
	v_cmp_gt_u32_e32 vcc, s17, v5
	s_and_saveexec_b64 s[2:3], vcc
; %bb.55:
	v_mov_b32_e32 v5, 0
	s_or_b64 s[0:1], s[0:1], exec
; %bb.56:
	s_or_b64 exec, exec, s[2:3]
.LBB8_57:
	s_and_saveexec_b64 s[2:3], s[0:1]
	s_cbranch_execz .LBB8_59
; %bb.58:
	v_lshlrev_b32_e32 v6, 3, v9
	ds_read_b64 v[6:7], v6
	v_lshlrev_b64 v[4:5], 3, v[4:5]
	v_mov_b32_e32 v10, s15
	v_add_co_u32_e32 v4, vcc, s14, v4
	v_addc_co_u32_e32 v5, vcc, v10, v5, vcc
	s_waitcnt lgkmcnt(0)
	global_store_dwordx2 v[4:5], v[6:7], off offset:24
.LBB8_59:
	s_or_b64 exec, exec, s[2:3]
	v_lshrrev_b32_e32 v4, 2, v0
	v_and_b32_e32 v4, 60, v4
	v_lshl_add_u32 v4, v8, 1, v4
	s_barrier
	s_barrier
	ds_write2_b32 v4, v2, v3 offset1:1
	v_lshrrev_b32_e32 v2, 4, v0
	v_and_b32_e32 v2, 12, v2
	v_or_b32_e32 v6, 0x100, v0
	v_add_u32_e32 v7, v1, v2
	v_lshrrev_b32_e32 v2, 4, v6
	v_and_b32_e32 v2, 28, v2
	v_or_b32_e32 v5, 0x200, v0
	s_mov_b32 s19, 0
	v_add_u32_e32 v8, v1, v2
	v_lshrrev_b32_e32 v2, 4, v5
	s_lshl_b64 s[0:1], s[18:19], 1
	v_and_b32_e32 v2, 44, v2
	v_or_b32_e32 v4, 0x300, v0
	s_add_u32 s0, s10, s0
	v_add_u32_e32 v9, v1, v2
	v_lshrrev_b32_e32 v2, 4, v4
	s_addc_u32 s1, s11, s1
	v_and_b32_e32 v2, 60, v2
	v_add_u32_e32 v10, v1, v2
	v_mov_b32_e32 v3, s1
	v_add_co_u32_e32 v2, vcc, s0, v1
	v_addc_co_u32_e32 v3, vcc, 0, v3, vcc
	s_and_b64 vcc, exec, s[20:21]
	s_waitcnt lgkmcnt(0)
	s_cbranch_vccz .LBB8_61
; %bb.60:
	s_barrier
	ds_read_u16 v11, v7
	ds_read_u16 v12, v8 offset:512
	ds_read_u16 v13, v9 offset:1024
	;; [unrolled: 1-line block ×3, first 2 shown]
	s_waitcnt lgkmcnt(3)
	global_store_short v[2:3], v11, off
	s_waitcnt lgkmcnt(2)
	global_store_short v[2:3], v12, off offset:512
	s_waitcnt lgkmcnt(1)
	global_store_short v[2:3], v13, off offset:1024
	s_mov_b64 s[0:1], -1
	s_cbranch_execz .LBB8_62
	s_branch .LBB8_67
.LBB8_61:
	s_mov_b64 s[0:1], 0
                                        ; implicit-def: $vgpr1
.LBB8_62:
	s_barrier
	s_waitcnt lgkmcnt(0)
	ds_read_u16 v11, v8 offset:512
	ds_read_u16 v8, v9 offset:1024
	;; [unrolled: 1-line block ×3, first 2 shown]
	s_sub_i32 s2, s16, s18
	v_cmp_gt_u32_e32 vcc, s2, v0
	s_and_saveexec_b64 s[0:1], vcc
	s_cbranch_execnz .LBB8_76
; %bb.63:
	s_or_b64 exec, exec, s[0:1]
	v_cmp_gt_u32_e32 vcc, s2, v6
	s_and_saveexec_b64 s[0:1], vcc
	s_cbranch_execnz .LBB8_77
.LBB8_64:
	s_or_b64 exec, exec, s[0:1]
	v_cmp_gt_u32_e32 vcc, s2, v5
	s_and_saveexec_b64 s[0:1], vcc
	s_cbranch_execz .LBB8_66
.LBB8_65:
	s_waitcnt lgkmcnt(1)
	global_store_short v[2:3], v8, off offset:1024
.LBB8_66:
	s_or_b64 exec, exec, s[0:1]
	v_cmp_gt_u32_e64 s[0:1], s2, v4
.LBB8_67:
	s_and_saveexec_b64 s[2:3], s[0:1]
	s_cbranch_execz .LBB8_69
; %bb.68:
	s_waitcnt lgkmcnt(0)
	global_store_short v[2:3], v1, off offset:1536
.LBB8_69:
	s_endpgm
.LBB8_70:
	v_mov_b32_e32 v2, s29
	v_add_co_u32_e32 v5, vcc, s7, v1
	v_mov_b32_e32 v3, 0
	v_addc_co_u32_e32 v7, vcc, 0, v2, vcc
	v_subrev_u32_e32 v2, s27, v0
	v_lshlrev_b64 v[2:3], 1, v[2:3]
	v_mov_b32_e32 v9, s5
	v_add_co_u32_e32 v2, vcc, s4, v2
	v_addc_co_u32_e32 v3, vcc, v9, v3, vcc
	v_cmp_gt_u32_e32 vcc, s27, v0
	v_cndmask_b32_e32 v3, v3, v7, vcc
	v_cndmask_b32_e32 v2, v2, v5, vcc
	global_load_ushort v2, v[2:3], off
	s_or_b64 exec, exec, s[0:1]
	v_cmp_gt_u32_e32 vcc, s17, v6
	s_and_saveexec_b64 s[2:3], vcc
	s_cbranch_execz .LBB8_6
.LBB8_71:
	v_mov_b32_e32 v7, 0
	v_lshlrev_b64 v[10:11], 1, v[6:7]
	v_mov_b32_e32 v5, s29
	v_add_co_u32_e32 v9, vcc, s7, v10
	v_addc_co_u32_e32 v5, vcc, v5, v11, vcc
	v_cmp_gt_u32_e32 vcc, s27, v6
	v_subrev_u32_e32 v6, s27, v6
	v_lshlrev_b64 v[6:7], 1, v[6:7]
	v_mov_b32_e32 v10, s5
	v_add_co_u32_e64 v6, s[0:1], s4, v6
	v_addc_co_u32_e64 v7, s[0:1], v10, v7, s[0:1]
	v_cndmask_b32_e32 v7, v7, v5, vcc
	v_cndmask_b32_e32 v6, v6, v9, vcc
	global_load_ushort v5, v[6:7], off
	s_mov_b32 s0, 0x5040100
	s_waitcnt vmcnt(0)
	v_perm_b32 v2, v5, v2, s0
	s_or_b64 exec, exec, s[2:3]
	v_cmp_gt_u32_e32 vcc, s17, v4
	s_and_saveexec_b64 s[0:1], vcc
	s_cbranch_execnz .LBB8_7
	s_branch .LBB8_8
.LBB8_72:
	v_subrev_u32_e32 v6, s27, v0
	v_cmp_gt_u32_e32 vcc, s28, v6
                                        ; implicit-def: $vgpr4_vgpr5
	s_and_saveexec_b64 s[8:9], vcc
	s_xor_b64 s[8:9], exec, s[8:9]
; %bb.73:
	v_mov_b32_e32 v7, 0
	v_lshlrev_b64 v[4:5], 3, v[6:7]
	v_mov_b32_e32 v6, s30
	v_add_co_u32_e32 v4, vcc, s29, v4
	s_mov_b64 s[6:7], exec
	v_addc_co_u32_e32 v5, vcc, v6, v5, vcc
; %bb.74:
	s_or_b64 exec, exec, s[8:9]
	s_and_b64 s[6:7], s[6:7], exec
	s_andn2_saveexec_b64 s[2:3], s[2:3]
	s_cbranch_execz .LBB8_26
.LBB8_75:
	v_lshlrev_b32_e32 v4, 3, v0
	v_mov_b32_e32 v5, s26
	v_add_co_u32_e32 v4, vcc, s19, v4
	v_addc_co_u32_e32 v5, vcc, 0, v5, vcc
	s_or_b64 s[6:7], s[6:7], exec
	s_or_b64 exec, exec, s[2:3]
	v_mad_u32_u24 v13, v0, 6, v1
	s_and_saveexec_b64 s[2:3], s[6:7]
	s_cbranch_execnz .LBB8_27
	s_branch .LBB8_28
.LBB8_76:
	ds_read_u16 v0, v7
	s_waitcnt lgkmcnt(0)
	global_store_short v[2:3], v0, off
	s_or_b64 exec, exec, s[0:1]
	v_cmp_gt_u32_e32 vcc, s2, v6
	s_and_saveexec_b64 s[0:1], vcc
	s_cbranch_execz .LBB8_64
.LBB8_77:
	s_waitcnt lgkmcnt(2)
	global_store_short v[2:3], v11, off offset:512
	s_or_b64 exec, exec, s[0:1]
	v_cmp_gt_u32_e32 vcc, s2, v5
	s_and_saveexec_b64 s[0:1], vcc
	s_cbranch_execnz .LBB8_65
	s_branch .LBB8_66
	.section	.rodata,"a",@progbits
	.p2align	6, 0x0
	.amdhsa_kernel _ZN7rocprim17ROCPRIM_304000_NS6detail35device_block_merge_mergepath_kernelINS1_37wrapped_merge_sort_block_merge_configINS0_14default_configEtN2at4cuda3cub6detail10OpaqueTypeILi8EEEEEPtSC_PSA_SD_jNS1_19radix_merge_compareILb1ELb1EtNS0_19identity_decomposerEEEEEvT0_T1_T2_T3_T4_SL_jT5_PKSL_NS1_7vsmem_tE
		.amdhsa_group_segment_fixed_size 8208
		.amdhsa_private_segment_fixed_size 0
		.amdhsa_kernarg_size 320
		.amdhsa_user_sgpr_count 6
		.amdhsa_user_sgpr_private_segment_buffer 1
		.amdhsa_user_sgpr_dispatch_ptr 0
		.amdhsa_user_sgpr_queue_ptr 0
		.amdhsa_user_sgpr_kernarg_segment_ptr 1
		.amdhsa_user_sgpr_dispatch_id 0
		.amdhsa_user_sgpr_flat_scratch_init 0
		.amdhsa_user_sgpr_kernarg_preload_length 0
		.amdhsa_user_sgpr_kernarg_preload_offset 0
		.amdhsa_user_sgpr_private_segment_size 0
		.amdhsa_uses_dynamic_stack 0
		.amdhsa_system_sgpr_private_segment_wavefront_offset 0
		.amdhsa_system_sgpr_workgroup_id_x 1
		.amdhsa_system_sgpr_workgroup_id_y 1
		.amdhsa_system_sgpr_workgroup_id_z 1
		.amdhsa_system_sgpr_workgroup_info 0
		.amdhsa_system_vgpr_workitem_id 0
		.amdhsa_next_free_vgpr 23
		.amdhsa_next_free_sgpr 31
		.amdhsa_accum_offset 24
		.amdhsa_reserve_vcc 1
		.amdhsa_reserve_flat_scratch 0
		.amdhsa_float_round_mode_32 0
		.amdhsa_float_round_mode_16_64 0
		.amdhsa_float_denorm_mode_32 3
		.amdhsa_float_denorm_mode_16_64 3
		.amdhsa_dx10_clamp 1
		.amdhsa_ieee_mode 1
		.amdhsa_fp16_overflow 0
		.amdhsa_tg_split 0
		.amdhsa_exception_fp_ieee_invalid_op 0
		.amdhsa_exception_fp_denorm_src 0
		.amdhsa_exception_fp_ieee_div_zero 0
		.amdhsa_exception_fp_ieee_overflow 0
		.amdhsa_exception_fp_ieee_underflow 0
		.amdhsa_exception_fp_ieee_inexact 0
		.amdhsa_exception_int_div_zero 0
	.end_amdhsa_kernel
	.section	.text._ZN7rocprim17ROCPRIM_304000_NS6detail35device_block_merge_mergepath_kernelINS1_37wrapped_merge_sort_block_merge_configINS0_14default_configEtN2at4cuda3cub6detail10OpaqueTypeILi8EEEEEPtSC_PSA_SD_jNS1_19radix_merge_compareILb1ELb1EtNS0_19identity_decomposerEEEEEvT0_T1_T2_T3_T4_SL_jT5_PKSL_NS1_7vsmem_tE,"axG",@progbits,_ZN7rocprim17ROCPRIM_304000_NS6detail35device_block_merge_mergepath_kernelINS1_37wrapped_merge_sort_block_merge_configINS0_14default_configEtN2at4cuda3cub6detail10OpaqueTypeILi8EEEEEPtSC_PSA_SD_jNS1_19radix_merge_compareILb1ELb1EtNS0_19identity_decomposerEEEEEvT0_T1_T2_T3_T4_SL_jT5_PKSL_NS1_7vsmem_tE,comdat
.Lfunc_end8:
	.size	_ZN7rocprim17ROCPRIM_304000_NS6detail35device_block_merge_mergepath_kernelINS1_37wrapped_merge_sort_block_merge_configINS0_14default_configEtN2at4cuda3cub6detail10OpaqueTypeILi8EEEEEPtSC_PSA_SD_jNS1_19radix_merge_compareILb1ELb1EtNS0_19identity_decomposerEEEEEvT0_T1_T2_T3_T4_SL_jT5_PKSL_NS1_7vsmem_tE, .Lfunc_end8-_ZN7rocprim17ROCPRIM_304000_NS6detail35device_block_merge_mergepath_kernelINS1_37wrapped_merge_sort_block_merge_configINS0_14default_configEtN2at4cuda3cub6detail10OpaqueTypeILi8EEEEEPtSC_PSA_SD_jNS1_19radix_merge_compareILb1ELb1EtNS0_19identity_decomposerEEEEEvT0_T1_T2_T3_T4_SL_jT5_PKSL_NS1_7vsmem_tE
                                        ; -- End function
	.section	.AMDGPU.csdata,"",@progbits
; Kernel info:
; codeLenInByte = 3608
; NumSgprs: 35
; NumVgprs: 23
; NumAgprs: 0
; TotalNumVgprs: 23
; ScratchSize: 0
; MemoryBound: 1
; FloatMode: 240
; IeeeMode: 1
; LDSByteSize: 8208 bytes/workgroup (compile time only)
; SGPRBlocks: 4
; VGPRBlocks: 2
; NumSGPRsForWavesPerEU: 35
; NumVGPRsForWavesPerEU: 23
; AccumOffset: 24
; Occupancy: 7
; WaveLimiterHint : 1
; COMPUTE_PGM_RSRC2:SCRATCH_EN: 0
; COMPUTE_PGM_RSRC2:USER_SGPR: 6
; COMPUTE_PGM_RSRC2:TRAP_HANDLER: 0
; COMPUTE_PGM_RSRC2:TGID_X_EN: 1
; COMPUTE_PGM_RSRC2:TGID_Y_EN: 1
; COMPUTE_PGM_RSRC2:TGID_Z_EN: 1
; COMPUTE_PGM_RSRC2:TIDIG_COMP_CNT: 0
; COMPUTE_PGM_RSRC3_GFX90A:ACCUM_OFFSET: 5
; COMPUTE_PGM_RSRC3_GFX90A:TG_SPLIT: 0
	.section	.text._ZN7rocprim17ROCPRIM_304000_NS6detail33device_block_merge_oddeven_kernelINS1_37wrapped_merge_sort_block_merge_configINS0_14default_configEtN2at4cuda3cub6detail10OpaqueTypeILi8EEEEEPtSC_PSA_SD_jNS1_19radix_merge_compareILb1ELb1EtNS0_19identity_decomposerEEEEEvT0_T1_T2_T3_T4_SL_T5_,"axG",@progbits,_ZN7rocprim17ROCPRIM_304000_NS6detail33device_block_merge_oddeven_kernelINS1_37wrapped_merge_sort_block_merge_configINS0_14default_configEtN2at4cuda3cub6detail10OpaqueTypeILi8EEEEEPtSC_PSA_SD_jNS1_19radix_merge_compareILb1ELb1EtNS0_19identity_decomposerEEEEEvT0_T1_T2_T3_T4_SL_T5_,comdat
	.protected	_ZN7rocprim17ROCPRIM_304000_NS6detail33device_block_merge_oddeven_kernelINS1_37wrapped_merge_sort_block_merge_configINS0_14default_configEtN2at4cuda3cub6detail10OpaqueTypeILi8EEEEEPtSC_PSA_SD_jNS1_19radix_merge_compareILb1ELb1EtNS0_19identity_decomposerEEEEEvT0_T1_T2_T3_T4_SL_T5_ ; -- Begin function _ZN7rocprim17ROCPRIM_304000_NS6detail33device_block_merge_oddeven_kernelINS1_37wrapped_merge_sort_block_merge_configINS0_14default_configEtN2at4cuda3cub6detail10OpaqueTypeILi8EEEEEPtSC_PSA_SD_jNS1_19radix_merge_compareILb1ELb1EtNS0_19identity_decomposerEEEEEvT0_T1_T2_T3_T4_SL_T5_
	.globl	_ZN7rocprim17ROCPRIM_304000_NS6detail33device_block_merge_oddeven_kernelINS1_37wrapped_merge_sort_block_merge_configINS0_14default_configEtN2at4cuda3cub6detail10OpaqueTypeILi8EEEEEPtSC_PSA_SD_jNS1_19radix_merge_compareILb1ELb1EtNS0_19identity_decomposerEEEEEvT0_T1_T2_T3_T4_SL_T5_
	.p2align	8
	.type	_ZN7rocprim17ROCPRIM_304000_NS6detail33device_block_merge_oddeven_kernelINS1_37wrapped_merge_sort_block_merge_configINS0_14default_configEtN2at4cuda3cub6detail10OpaqueTypeILi8EEEEEPtSC_PSA_SD_jNS1_19radix_merge_compareILb1ELb1EtNS0_19identity_decomposerEEEEEvT0_T1_T2_T3_T4_SL_T5_,@function
_ZN7rocprim17ROCPRIM_304000_NS6detail33device_block_merge_oddeven_kernelINS1_37wrapped_merge_sort_block_merge_configINS0_14default_configEtN2at4cuda3cub6detail10OpaqueTypeILi8EEEEEPtSC_PSA_SD_jNS1_19radix_merge_compareILb1ELb1EtNS0_19identity_decomposerEEEEEvT0_T1_T2_T3_T4_SL_T5_: ; @_ZN7rocprim17ROCPRIM_304000_NS6detail33device_block_merge_oddeven_kernelINS1_37wrapped_merge_sort_block_merge_configINS0_14default_configEtN2at4cuda3cub6detail10OpaqueTypeILi8EEEEEPtSC_PSA_SD_jNS1_19radix_merge_compareILb1ELb1EtNS0_19identity_decomposerEEEEEvT0_T1_T2_T3_T4_SL_T5_
; %bb.0:
	s_load_dwordx4 s[16:19], s[4:5], 0x20
	s_waitcnt lgkmcnt(0)
	s_lshr_b32 s2, s16, 8
	s_cmp_lg_u32 s6, s2
	s_cselect_b64 s[0:1], -1, 0
	s_cmp_eq_u32 s6, s2
	s_cselect_b64 s[20:21], -1, 0
	s_lshl_b32 s22, s6, 8
	s_sub_i32 s2, s16, s22
	v_cmp_gt_u32_e64 s[2:3], s2, v0
	s_or_b64 s[0:1], s[0:1], s[2:3]
	s_and_saveexec_b64 s[8:9], s[0:1]
	s_cbranch_execz .LBB9_26
; %bb.1:
	s_load_dwordx8 s[8:15], s[4:5], 0x0
	s_mov_b32 s23, 0
	s_lshl_b64 s[0:1], s[22:23], 1
	v_lshlrev_b32_e32 v4, 3, v0
	v_lshlrev_b32_e32 v1, 1, v0
	s_waitcnt lgkmcnt(0)
	s_add_u32 s0, s8, s0
	s_addc_u32 s1, s9, s1
	s_lshl_b64 s[4:5], s[22:23], 3
	s_add_u32 s4, s12, s4
	s_addc_u32 s5, s13, s5
	global_load_dwordx2 v[2:3], v4, s[4:5]
	global_load_ushort v6, v1, s[0:1]
	s_lshr_b32 s0, s17, 8
	s_sub_i32 s1, 0, s0
	s_and_b32 s1, s6, s1
	s_and_b32 s0, s1, s0
	s_lshl_b32 s23, s1, 8
	s_sub_i32 s6, 0, s17
	s_cmp_eq_u32 s0, 0
	s_cselect_b64 s[0:1], -1, 0
	s_and_b64 s[4:5], s[0:1], exec
	s_cselect_b32 s19, s17, s6
	s_add_i32 s19, s19, s23
	s_cmp_lt_u32 s19, s16
	v_add_u32_e32 v4, s22, v0
	s_cbranch_scc1 .LBB9_6
; %bb.2:
	s_and_b64 vcc, exec, s[20:21]
	s_cbranch_vccz .LBB9_7
; %bb.3:
	v_cmp_gt_u32_e32 vcc, s16, v4
	s_mov_b64 s[6:7], 0
	s_mov_b64 s[4:5], 0
                                        ; implicit-def: $vgpr0_vgpr1
	s_and_saveexec_b64 s[12:13], vcc
	s_cbranch_execz .LBB9_5
; %bb.4:
	v_mov_b32_e32 v5, 0
	v_lshlrev_b64 v[0:1], 3, v[4:5]
	v_mov_b32_e32 v7, s15
	v_add_co_u32_e32 v0, vcc, s14, v0
	v_addc_co_u32_e32 v1, vcc, v7, v1, vcc
	v_lshlrev_b64 v[8:9], 1, v[4:5]
	v_mov_b32_e32 v5, s11
	v_add_co_u32_e32 v8, vcc, s10, v8
	s_mov_b64 s[4:5], exec
	v_addc_co_u32_e32 v9, vcc, v5, v9, vcc
	s_waitcnt vmcnt(0)
	global_store_short v[8:9], v6, off
.LBB9_5:
	s_or_b64 exec, exec, s[12:13]
	s_and_b64 vcc, exec, s[6:7]
	s_cbranch_vccnz .LBB9_8
	s_branch .LBB9_9
.LBB9_6:
	s_mov_b64 s[4:5], 0
                                        ; implicit-def: $vgpr0_vgpr1
	s_cbranch_execnz .LBB9_10
	s_branch .LBB9_24
.LBB9_7:
	s_mov_b64 s[4:5], 0
                                        ; implicit-def: $vgpr0_vgpr1
	s_cbranch_execz .LBB9_9
.LBB9_8:
	v_mov_b32_e32 v5, 0
	v_lshlrev_b64 v[0:1], 1, v[4:5]
	v_mov_b32_e32 v7, s11
	v_add_co_u32_e32 v0, vcc, s10, v0
	v_addc_co_u32_e32 v1, vcc, v7, v1, vcc
	s_waitcnt vmcnt(0)
	global_store_short v[0:1], v6, off
	v_lshlrev_b64 v[0:1], 3, v[4:5]
	v_mov_b32_e32 v5, s15
	v_add_co_u32_e32 v0, vcc, s14, v0
	v_addc_co_u32_e32 v1, vcc, v5, v1, vcc
	s_or_b64 s[4:5], s[4:5], exec
.LBB9_9:
	s_branch .LBB9_24
.LBB9_10:
	s_min_u32 s12, s19, s16
	s_add_i32 s6, s12, s17
	s_min_u32 s13, s6, s16
	s_min_u32 s6, s23, s12
	s_add_i32 s23, s23, s12
	v_subrev_u32_e32 v0, s23, v4
	v_add_u32_e32 v4, s6, v0
	s_and_b64 vcc, exec, s[20:21]
	s_cbranch_vccz .LBB9_18
; %bb.11:
                                        ; implicit-def: $vgpr0_vgpr1
	s_and_saveexec_b64 s[6:7], s[2:3]
	s_cbranch_execz .LBB9_17
; %bb.12:
	s_cmp_ge_u32 s19, s13
	v_mov_b32_e32 v0, s12
	s_cbranch_scc1 .LBB9_16
; %bb.13:
	s_waitcnt vmcnt(0)
	v_and_b32_e32 v1, s18, v6
	s_mov_b64 s[2:3], 0
	v_mov_b32_e32 v5, s13
	v_mov_b32_e32 v0, s12
.LBB9_14:                               ; =>This Inner Loop Header: Depth=1
	v_add_u32_e32 v7, v0, v5
	v_and_b32_e32 v8, -2, v7
	global_load_ushort v8, v8, s[8:9]
	v_lshrrev_b32_e32 v7, 1, v7
	v_add_u32_e32 v9, 1, v7
	s_waitcnt vmcnt(0)
	v_and_b32_e32 v8, s18, v8
	v_cmp_gt_u16_e32 vcc, v8, v1
	v_cndmask_b32_e64 v10, 0, 1, vcc
	v_cmp_le_u16_e32 vcc, v1, v8
	v_cndmask_b32_e64 v8, 0, 1, vcc
	v_cndmask_b32_e64 v8, v8, v10, s[0:1]
	v_and_b32_e32 v8, 1, v8
	v_cmp_eq_u32_e32 vcc, 1, v8
	v_cndmask_b32_e32 v5, v7, v5, vcc
	v_cndmask_b32_e32 v0, v0, v9, vcc
	v_cmp_ge_u32_e32 vcc, v0, v5
	s_or_b64 s[2:3], vcc, s[2:3]
	s_andn2_b64 exec, exec, s[2:3]
	s_cbranch_execnz .LBB9_14
; %bb.15:
	s_or_b64 exec, exec, s[2:3]
.LBB9_16:
	v_add_u32_e32 v0, v0, v4
	v_mov_b32_e32 v1, 0
	v_lshlrev_b64 v[8:9], 1, v[0:1]
	v_mov_b32_e32 v5, s11
	v_add_co_u32_e32 v8, vcc, s10, v8
	v_addc_co_u32_e32 v9, vcc, v5, v9, vcc
	v_lshlrev_b64 v[0:1], 3, v[0:1]
	v_mov_b32_e32 v5, s15
	v_add_co_u32_e32 v0, vcc, s14, v0
	s_waitcnt vmcnt(0)
	global_store_short v[8:9], v6, off
	v_addc_co_u32_e32 v1, vcc, v5, v1, vcc
	s_or_b64 s[4:5], s[4:5], exec
.LBB9_17:
	s_or_b64 exec, exec, s[6:7]
	s_branch .LBB9_24
.LBB9_18:
                                        ; implicit-def: $vgpr0_vgpr1
	s_cbranch_execz .LBB9_24
; %bb.19:
	s_cmp_ge_u32 s19, s13
	v_mov_b32_e32 v0, s12
	s_cbranch_scc1 .LBB9_23
; %bb.20:
	s_waitcnt vmcnt(0)
	v_and_b32_e32 v1, s18, v6
	s_mov_b64 s[2:3], 0
	v_mov_b32_e32 v5, s13
	v_mov_b32_e32 v0, s12
.LBB9_21:                               ; =>This Inner Loop Header: Depth=1
	v_add_u32_e32 v7, v0, v5
	v_and_b32_e32 v8, -2, v7
	global_load_ushort v8, v8, s[8:9]
	v_lshrrev_b32_e32 v7, 1, v7
	v_add_u32_e32 v9, 1, v7
	s_waitcnt vmcnt(0)
	v_and_b32_e32 v8, s18, v8
	v_cmp_gt_u16_e32 vcc, v8, v1
	v_cndmask_b32_e64 v10, 0, 1, vcc
	v_cmp_le_u16_e32 vcc, v1, v8
	v_cndmask_b32_e64 v8, 0, 1, vcc
	v_cndmask_b32_e64 v8, v8, v10, s[0:1]
	v_and_b32_e32 v8, 1, v8
	v_cmp_eq_u32_e32 vcc, 1, v8
	v_cndmask_b32_e32 v5, v7, v5, vcc
	v_cndmask_b32_e32 v0, v0, v9, vcc
	v_cmp_ge_u32_e32 vcc, v0, v5
	s_or_b64 s[2:3], vcc, s[2:3]
	s_andn2_b64 exec, exec, s[2:3]
	s_cbranch_execnz .LBB9_21
; %bb.22:
	s_or_b64 exec, exec, s[2:3]
.LBB9_23:
	v_add_u32_e32 v0, v0, v4
	v_mov_b32_e32 v1, 0
	v_lshlrev_b64 v[4:5], 1, v[0:1]
	v_mov_b32_e32 v7, s11
	v_add_co_u32_e32 v4, vcc, s10, v4
	v_addc_co_u32_e32 v5, vcc, v7, v5, vcc
	v_lshlrev_b64 v[0:1], 3, v[0:1]
	s_waitcnt vmcnt(0)
	global_store_short v[4:5], v6, off
	v_mov_b32_e32 v4, s15
	v_add_co_u32_e32 v0, vcc, s14, v0
	v_addc_co_u32_e32 v1, vcc, v4, v1, vcc
	s_mov_b64 s[4:5], -1
.LBB9_24:
	s_and_b64 exec, exec, s[4:5]
	s_cbranch_execz .LBB9_26
; %bb.25:
	s_waitcnt vmcnt(1)
	global_store_dwordx2 v[0:1], v[2:3], off
.LBB9_26:
	s_endpgm
	.section	.rodata,"a",@progbits
	.p2align	6, 0x0
	.amdhsa_kernel _ZN7rocprim17ROCPRIM_304000_NS6detail33device_block_merge_oddeven_kernelINS1_37wrapped_merge_sort_block_merge_configINS0_14default_configEtN2at4cuda3cub6detail10OpaqueTypeILi8EEEEEPtSC_PSA_SD_jNS1_19radix_merge_compareILb1ELb1EtNS0_19identity_decomposerEEEEEvT0_T1_T2_T3_T4_SL_T5_
		.amdhsa_group_segment_fixed_size 0
		.amdhsa_private_segment_fixed_size 0
		.amdhsa_kernarg_size 44
		.amdhsa_user_sgpr_count 6
		.amdhsa_user_sgpr_private_segment_buffer 1
		.amdhsa_user_sgpr_dispatch_ptr 0
		.amdhsa_user_sgpr_queue_ptr 0
		.amdhsa_user_sgpr_kernarg_segment_ptr 1
		.amdhsa_user_sgpr_dispatch_id 0
		.amdhsa_user_sgpr_flat_scratch_init 0
		.amdhsa_user_sgpr_kernarg_preload_length 0
		.amdhsa_user_sgpr_kernarg_preload_offset 0
		.amdhsa_user_sgpr_private_segment_size 0
		.amdhsa_uses_dynamic_stack 0
		.amdhsa_system_sgpr_private_segment_wavefront_offset 0
		.amdhsa_system_sgpr_workgroup_id_x 1
		.amdhsa_system_sgpr_workgroup_id_y 0
		.amdhsa_system_sgpr_workgroup_id_z 0
		.amdhsa_system_sgpr_workgroup_info 0
		.amdhsa_system_vgpr_workitem_id 0
		.amdhsa_next_free_vgpr 11
		.amdhsa_next_free_sgpr 24
		.amdhsa_accum_offset 12
		.amdhsa_reserve_vcc 1
		.amdhsa_reserve_flat_scratch 0
		.amdhsa_float_round_mode_32 0
		.amdhsa_float_round_mode_16_64 0
		.amdhsa_float_denorm_mode_32 3
		.amdhsa_float_denorm_mode_16_64 3
		.amdhsa_dx10_clamp 1
		.amdhsa_ieee_mode 1
		.amdhsa_fp16_overflow 0
		.amdhsa_tg_split 0
		.amdhsa_exception_fp_ieee_invalid_op 0
		.amdhsa_exception_fp_denorm_src 0
		.amdhsa_exception_fp_ieee_div_zero 0
		.amdhsa_exception_fp_ieee_overflow 0
		.amdhsa_exception_fp_ieee_underflow 0
		.amdhsa_exception_fp_ieee_inexact 0
		.amdhsa_exception_int_div_zero 0
	.end_amdhsa_kernel
	.section	.text._ZN7rocprim17ROCPRIM_304000_NS6detail33device_block_merge_oddeven_kernelINS1_37wrapped_merge_sort_block_merge_configINS0_14default_configEtN2at4cuda3cub6detail10OpaqueTypeILi8EEEEEPtSC_PSA_SD_jNS1_19radix_merge_compareILb1ELb1EtNS0_19identity_decomposerEEEEEvT0_T1_T2_T3_T4_SL_T5_,"axG",@progbits,_ZN7rocprim17ROCPRIM_304000_NS6detail33device_block_merge_oddeven_kernelINS1_37wrapped_merge_sort_block_merge_configINS0_14default_configEtN2at4cuda3cub6detail10OpaqueTypeILi8EEEEEPtSC_PSA_SD_jNS1_19radix_merge_compareILb1ELb1EtNS0_19identity_decomposerEEEEEvT0_T1_T2_T3_T4_SL_T5_,comdat
.Lfunc_end9:
	.size	_ZN7rocprim17ROCPRIM_304000_NS6detail33device_block_merge_oddeven_kernelINS1_37wrapped_merge_sort_block_merge_configINS0_14default_configEtN2at4cuda3cub6detail10OpaqueTypeILi8EEEEEPtSC_PSA_SD_jNS1_19radix_merge_compareILb1ELb1EtNS0_19identity_decomposerEEEEEvT0_T1_T2_T3_T4_SL_T5_, .Lfunc_end9-_ZN7rocprim17ROCPRIM_304000_NS6detail33device_block_merge_oddeven_kernelINS1_37wrapped_merge_sort_block_merge_configINS0_14default_configEtN2at4cuda3cub6detail10OpaqueTypeILi8EEEEEPtSC_PSA_SD_jNS1_19radix_merge_compareILb1ELb1EtNS0_19identity_decomposerEEEEEvT0_T1_T2_T3_T4_SL_T5_
                                        ; -- End function
	.section	.AMDGPU.csdata,"",@progbits
; Kernel info:
; codeLenInByte = 840
; NumSgprs: 28
; NumVgprs: 11
; NumAgprs: 0
; TotalNumVgprs: 11
; ScratchSize: 0
; MemoryBound: 0
; FloatMode: 240
; IeeeMode: 1
; LDSByteSize: 0 bytes/workgroup (compile time only)
; SGPRBlocks: 3
; VGPRBlocks: 1
; NumSGPRsForWavesPerEU: 28
; NumVGPRsForWavesPerEU: 11
; AccumOffset: 12
; Occupancy: 8
; WaveLimiterHint : 0
; COMPUTE_PGM_RSRC2:SCRATCH_EN: 0
; COMPUTE_PGM_RSRC2:USER_SGPR: 6
; COMPUTE_PGM_RSRC2:TRAP_HANDLER: 0
; COMPUTE_PGM_RSRC2:TGID_X_EN: 1
; COMPUTE_PGM_RSRC2:TGID_Y_EN: 0
; COMPUTE_PGM_RSRC2:TGID_Z_EN: 0
; COMPUTE_PGM_RSRC2:TIDIG_COMP_CNT: 0
; COMPUTE_PGM_RSRC3_GFX90A:ACCUM_OFFSET: 2
; COMPUTE_PGM_RSRC3_GFX90A:TG_SPLIT: 0
	.section	.text._ZN7rocprim17ROCPRIM_304000_NS6detail26onesweep_histograms_kernelINS1_34wrapped_radix_sort_onesweep_configINS0_14default_configEtN2at4cuda3cub6detail10OpaqueTypeILi8EEEEELb1EPKtmNS0_19identity_decomposerEEEvT1_PT2_SG_SG_T3_jj,"axG",@progbits,_ZN7rocprim17ROCPRIM_304000_NS6detail26onesweep_histograms_kernelINS1_34wrapped_radix_sort_onesweep_configINS0_14default_configEtN2at4cuda3cub6detail10OpaqueTypeILi8EEEEELb1EPKtmNS0_19identity_decomposerEEEvT1_PT2_SG_SG_T3_jj,comdat
	.protected	_ZN7rocprim17ROCPRIM_304000_NS6detail26onesweep_histograms_kernelINS1_34wrapped_radix_sort_onesweep_configINS0_14default_configEtN2at4cuda3cub6detail10OpaqueTypeILi8EEEEELb1EPKtmNS0_19identity_decomposerEEEvT1_PT2_SG_SG_T3_jj ; -- Begin function _ZN7rocprim17ROCPRIM_304000_NS6detail26onesweep_histograms_kernelINS1_34wrapped_radix_sort_onesweep_configINS0_14default_configEtN2at4cuda3cub6detail10OpaqueTypeILi8EEEEELb1EPKtmNS0_19identity_decomposerEEEvT1_PT2_SG_SG_T3_jj
	.globl	_ZN7rocprim17ROCPRIM_304000_NS6detail26onesweep_histograms_kernelINS1_34wrapped_radix_sort_onesweep_configINS0_14default_configEtN2at4cuda3cub6detail10OpaqueTypeILi8EEEEELb1EPKtmNS0_19identity_decomposerEEEvT1_PT2_SG_SG_T3_jj
	.p2align	8
	.type	_ZN7rocprim17ROCPRIM_304000_NS6detail26onesweep_histograms_kernelINS1_34wrapped_radix_sort_onesweep_configINS0_14default_configEtN2at4cuda3cub6detail10OpaqueTypeILi8EEEEELb1EPKtmNS0_19identity_decomposerEEEvT1_PT2_SG_SG_T3_jj,@function
_ZN7rocprim17ROCPRIM_304000_NS6detail26onesweep_histograms_kernelINS1_34wrapped_radix_sort_onesweep_configINS0_14default_configEtN2at4cuda3cub6detail10OpaqueTypeILi8EEEEELb1EPKtmNS0_19identity_decomposerEEEvT1_PT2_SG_SG_T3_jj: ; @_ZN7rocprim17ROCPRIM_304000_NS6detail26onesweep_histograms_kernelINS1_34wrapped_radix_sort_onesweep_configINS0_14default_configEtN2at4cuda3cub6detail10OpaqueTypeILi8EEEEELb1EPKtmNS0_19identity_decomposerEEEvT1_PT2_SG_SG_T3_jj
; %bb.0:
	s_load_dwordx8 s[12:19], s[4:5], 0x0
	s_load_dwordx2 s[20:21], s[4:5], 0x24
	s_mov_b32 s7, 0
	s_mul_i32 s1, s6, 0x3000
	s_mul_hi_u32 s0, s6, 0x3000
	s_waitcnt lgkmcnt(0)
	v_pk_mov_b32 v[2:3], s[18:19], s[18:19] op_sel:[0,1]
	v_cmp_ge_u64_e32 vcc, s[6:7], v[2:3]
	s_add_u32 s12, s12, s1
	s_addc_u32 s13, s13, s0
	s_mov_b64 s[0:1], -1
	v_lshlrev_b32_e32 v1, 1, v0
	s_cbranch_vccz .LBB10_44
; %bb.1:
	s_mul_i32 s0, s18, 0xffffe800
	s_add_i32 s16, s0, s16
	v_mov_b32_e32 v2, s13
	v_add_co_u32_e32 v6, vcc, s12, v1
	v_addc_co_u32_e32 v7, vcc, 0, v2, vcc
	v_cmp_gt_u32_e64 s[10:11], s16, v0
                                        ; implicit-def: $vgpr2_vgpr3_vgpr4_vgpr5
	s_and_saveexec_b64 s[0:1], s[10:11]
	s_cbranch_execz .LBB10_3
; %bb.2:
	global_load_ushort v2, v[6:7], off
.LBB10_3:
	s_or_b64 exec, exec, s[0:1]
	v_or_b32_e32 v5, 0x400, v0
	v_cmp_gt_u32_e64 s[8:9], s16, v5
	s_and_saveexec_b64 s[0:1], s[8:9]
	s_cbranch_execz .LBB10_5
; %bb.4:
	global_load_ushort v5, v[6:7], off offset:2048
	s_mov_b32 s2, 0x5040100
	s_waitcnt vmcnt(0)
	v_perm_b32 v2, v5, v2, s2
.LBB10_5:
	s_or_b64 exec, exec, s[0:1]
	v_or_b32_e32 v5, 0x800, v0
	v_cmp_gt_u32_e64 s[6:7], s16, v5
	s_and_saveexec_b64 s[0:1], s[6:7]
	s_cbranch_execz .LBB10_7
; %bb.6:
	v_add_co_u32_e32 v8, vcc, 0x1000, v6
	v_addc_co_u32_e32 v9, vcc, 0, v7, vcc
	global_load_ushort v5, v[8:9], off
	s_mov_b32 s2, 0xffff
	s_waitcnt vmcnt(0)
	v_bfi_b32 v3, s2, v5, v3
.LBB10_7:
	s_or_b64 exec, exec, s[0:1]
	v_or_b32_e32 v5, 0xc00, v0
	v_cmp_gt_u32_e64 s[4:5], s16, v5
	s_and_saveexec_b64 s[0:1], s[4:5]
	s_cbranch_execz .LBB10_9
; %bb.8:
	v_add_co_u32_e32 v8, vcc, 0x1000, v6
	v_addc_co_u32_e32 v9, vcc, 0, v7, vcc
	global_load_ushort v5, v[8:9], off offset:2048
	s_mov_b32 s2, 0x5040100
	s_waitcnt vmcnt(0)
	v_perm_b32 v3, v5, v3, s2
.LBB10_9:
	s_or_b64 exec, exec, s[0:1]
	v_or_b32_e32 v5, 0x1000, v0
	v_cmp_gt_u32_e64 s[2:3], s16, v5
	s_and_saveexec_b64 s[0:1], s[2:3]
	s_cbranch_execz .LBB10_11
; %bb.10:
	v_add_co_u32_e32 v8, vcc, 0x2000, v6
	v_addc_co_u32_e32 v9, vcc, 0, v7, vcc
	global_load_ushort v5, v[8:9], off
	s_mov_b32 s17, 0xffff
	s_waitcnt vmcnt(0)
	v_bfi_b32 v4, s17, v5, v4
.LBB10_11:
	s_or_b64 exec, exec, s[0:1]
	v_or_b32_e32 v5, 0x1400, v0
	v_cmp_gt_u32_e64 s[0:1], s16, v5
	s_and_saveexec_b64 s[16:17], s[0:1]
	s_cbranch_execz .LBB10_13
; %bb.12:
	v_add_co_u32_e32 v6, vcc, 0x2000, v6
	v_addc_co_u32_e32 v7, vcc, 0, v7, vcc
	global_load_ushort v5, v[6:7], off offset:2048
	s_mov_b32 s18, 0x5040100
	s_waitcnt vmcnt(0)
	v_perm_b32 v4, v5, v4, s18
.LBB10_13:
	s_or_b64 exec, exec, s[16:17]
	s_cmp_gt_u32 s21, s20
	v_lshlrev_b32_e32 v5, 2, v0
	v_mov_b32_e32 v6, 0
	s_cselect_b64 s[16:17], -1, 0
	s_cmp_le_u32 s21, s20
	ds_write2st64_b32 v5, v6, v6 offset1:16
	s_waitcnt lgkmcnt(0)
	s_barrier
	s_cbranch_scc1 .LBB10_38
; %bb.14:
	v_and_b32_e32 v5, 3, v0
	v_lshlrev_b32_e32 v5, 2, v5
	s_sub_i32 s22, s21, s20
	s_waitcnt vmcnt(0)
	v_xor_b32_e32 v6, -1, v2
	v_mov_b32_e32 v7, 1
	s_mov_b32 s23, s22
	v_mov_b32_e32 v8, v5
	s_mov_b32 s24, s20
	s_branch .LBB10_16
.LBB10_15:                              ;   in Loop: Header=BB10_16 Depth=1
	s_or_b64 exec, exec, s[18:19]
	s_add_i32 s24, s24, 8
	s_add_i32 s23, s23, -8
	s_cmp_ge_u32 s24, s21
	v_add_u32_e32 v8, 0x1000, v8
	s_cbranch_scc1 .LBB10_18
.LBB10_16:                              ; =>This Inner Loop Header: Depth=1
	s_and_saveexec_b64 s[18:19], s[10:11]
	s_cbranch_execz .LBB10_15
; %bb.17:                               ;   in Loop: Header=BB10_16 Depth=1
	s_min_u32 s25, s23, 8
	v_lshrrev_b32_sdwa v9, s24, v6 dst_sel:DWORD dst_unused:UNUSED_PAD src0_sel:DWORD src1_sel:WORD_0
	v_bfe_u32 v9, v9, 0, s25
	v_lshl_add_u32 v9, v9, 4, v8
	ds_add_u32 v9, v7
	s_branch .LBB10_15
.LBB10_18:
	v_mov_b32_e32 v6, -1
	v_xor_b32_sdwa v2, v2, v6 dst_sel:DWORD dst_unused:UNUSED_PAD src0_sel:WORD_1 src1_sel:DWORD
	v_mov_b32_e32 v6, 1
	s_mov_b32 s18, s22
	v_mov_b32_e32 v7, v5
	s_mov_b32 s19, s20
	s_branch .LBB10_20
.LBB10_19:                              ;   in Loop: Header=BB10_20 Depth=1
	s_or_b64 exec, exec, s[10:11]
	s_add_i32 s19, s19, 8
	s_add_i32 s18, s18, -8
	s_cmp_lt_u32 s19, s21
	v_add_u32_e32 v7, 0x1000, v7
	s_cbranch_scc0 .LBB10_22
.LBB10_20:                              ; =>This Inner Loop Header: Depth=1
	s_and_saveexec_b64 s[10:11], s[8:9]
	s_cbranch_execz .LBB10_19
; %bb.21:                               ;   in Loop: Header=BB10_20 Depth=1
	s_min_u32 s23, s18, 8
	v_lshrrev_b32_sdwa v8, s19, v2 dst_sel:DWORD dst_unused:UNUSED_PAD src0_sel:DWORD src1_sel:WORD_0
	v_bfe_u32 v8, v8, 0, s23
	v_lshl_add_u32 v8, v8, 4, v7
	ds_add_u32 v8, v6
	s_branch .LBB10_19
.LBB10_22:
	v_xor_b32_e32 v2, -1, v3
	v_mov_b32_e32 v6, 1
	s_mov_b32 s10, s22
	v_mov_b32_e32 v7, v5
	s_mov_b32 s11, s20
	s_branch .LBB10_24
.LBB10_23:                              ;   in Loop: Header=BB10_24 Depth=1
	s_or_b64 exec, exec, s[8:9]
	s_add_i32 s11, s11, 8
	s_add_i32 s10, s10, -8
	s_cmp_lt_u32 s11, s21
	v_add_u32_e32 v7, 0x1000, v7
	s_cbranch_scc0 .LBB10_26
.LBB10_24:                              ; =>This Inner Loop Header: Depth=1
	s_and_saveexec_b64 s[8:9], s[6:7]
	s_cbranch_execz .LBB10_23
; %bb.25:                               ;   in Loop: Header=BB10_24 Depth=1
	s_min_u32 s18, s10, 8
	v_lshrrev_b32_sdwa v8, s11, v2 dst_sel:DWORD dst_unused:UNUSED_PAD src0_sel:DWORD src1_sel:WORD_0
	v_bfe_u32 v8, v8, 0, s18
	v_lshl_add_u32 v8, v8, 4, v7
	ds_add_u32 v8, v6
	s_branch .LBB10_23
.LBB10_26:
	v_mov_b32_e32 v2, -1
	v_xor_b32_sdwa v2, v3, v2 dst_sel:DWORD dst_unused:UNUSED_PAD src0_sel:WORD_1 src1_sel:DWORD
	v_mov_b32_e32 v3, 1
	s_mov_b32 s8, s22
	v_mov_b32_e32 v6, v5
	s_mov_b32 s9, s20
	s_branch .LBB10_28
.LBB10_27:                              ;   in Loop: Header=BB10_28 Depth=1
	s_or_b64 exec, exec, s[6:7]
	s_add_i32 s9, s9, 8
	s_add_i32 s8, s8, -8
	s_cmp_lt_u32 s9, s21
	v_add_u32_e32 v6, 0x1000, v6
	s_cbranch_scc0 .LBB10_30
.LBB10_28:                              ; =>This Inner Loop Header: Depth=1
	s_and_saveexec_b64 s[6:7], s[4:5]
	s_cbranch_execz .LBB10_27
; %bb.29:                               ;   in Loop: Header=BB10_28 Depth=1
	s_min_u32 s10, s8, 8
	v_lshrrev_b32_sdwa v7, s9, v2 dst_sel:DWORD dst_unused:UNUSED_PAD src0_sel:DWORD src1_sel:WORD_0
	v_bfe_u32 v7, v7, 0, s10
	v_lshl_add_u32 v7, v7, 4, v6
	ds_add_u32 v7, v3
	s_branch .LBB10_27
.LBB10_30:
	v_xor_b32_e32 v2, -1, v4
	v_mov_b32_e32 v3, 1
	s_mov_b32 s6, s22
	v_mov_b32_e32 v6, v5
	s_mov_b32 s7, s20
	s_branch .LBB10_32
.LBB10_31:                              ;   in Loop: Header=BB10_32 Depth=1
	s_or_b64 exec, exec, s[4:5]
	s_add_i32 s7, s7, 8
	s_add_i32 s6, s6, -8
	s_cmp_lt_u32 s7, s21
	v_add_u32_e32 v6, 0x1000, v6
	s_cbranch_scc0 .LBB10_34
.LBB10_32:                              ; =>This Inner Loop Header: Depth=1
	s_and_saveexec_b64 s[4:5], s[2:3]
	s_cbranch_execz .LBB10_31
; %bb.33:                               ;   in Loop: Header=BB10_32 Depth=1
	s_min_u32 s8, s6, 8
	v_lshrrev_b32_sdwa v7, s7, v2 dst_sel:DWORD dst_unused:UNUSED_PAD src0_sel:DWORD src1_sel:WORD_0
	v_bfe_u32 v7, v7, 0, s8
	v_lshl_add_u32 v7, v7, 4, v6
	ds_add_u32 v7, v3
	s_branch .LBB10_31
.LBB10_34:
	v_mov_b32_e32 v2, -1
	v_xor_b32_sdwa v2, v4, v2 dst_sel:DWORD dst_unused:UNUSED_PAD src0_sel:WORD_1 src1_sel:DWORD
	v_mov_b32_e32 v3, 1
	s_mov_b32 s4, s20
	s_branch .LBB10_36
.LBB10_35:                              ;   in Loop: Header=BB10_36 Depth=1
	s_or_b64 exec, exec, s[2:3]
	s_add_i32 s4, s4, 8
	s_add_i32 s22, s22, -8
	s_cmp_lt_u32 s4, s21
	v_add_u32_e32 v5, 0x1000, v5
	s_cbranch_scc0 .LBB10_38
.LBB10_36:                              ; =>This Inner Loop Header: Depth=1
	s_and_saveexec_b64 s[2:3], s[0:1]
	s_cbranch_execz .LBB10_35
; %bb.37:                               ;   in Loop: Header=BB10_36 Depth=1
	s_min_u32 s5, s22, 8
	v_lshrrev_b32_sdwa v4, s4, v2 dst_sel:DWORD dst_unused:UNUSED_PAD src0_sel:DWORD src1_sel:WORD_0
	v_bfe_u32 v4, v4, 0, s5
	v_lshl_add_u32 v4, v4, 4, v5
	ds_add_u32 v4, v3
	s_branch .LBB10_35
.LBB10_38:
	s_and_b64 vcc, exec, s[16:17]
	s_waitcnt lgkmcnt(0)
	s_barrier
	s_cbranch_vccz .LBB10_43
; %bb.39:
	s_movk_i32 s0, 0x100
	v_cmp_gt_u32_e32 vcc, s0, v0
	v_lshlrev_b32_e32 v4, 4, v0
	v_mov_b32_e32 v3, 0
	s_waitcnt vmcnt(0)
	v_mov_b32_e32 v2, v0
	s_mov_b32 s4, s20
	s_branch .LBB10_41
.LBB10_40:                              ;   in Loop: Header=BB10_41 Depth=1
	s_or_b64 exec, exec, s[2:3]
	s_add_i32 s4, s4, 8
	v_add_u32_e32 v2, 0x100, v2
	s_cmp_lt_u32 s4, s21
	v_add_u32_e32 v4, 0x1000, v4
	s_cbranch_scc0 .LBB10_43
.LBB10_41:                              ; =>This Inner Loop Header: Depth=1
	s_and_saveexec_b64 s[2:3], vcc
	s_cbranch_execz .LBB10_40
; %bb.42:                               ;   in Loop: Header=BB10_41 Depth=1
	ds_read2_b32 v[6:7], v4 offset1:1
	ds_read2_b32 v[8:9], v4 offset0:2 offset1:3
	v_lshlrev_b64 v[10:11], 3, v[2:3]
	v_mov_b32_e32 v5, s15
	s_waitcnt lgkmcnt(1)
	v_add_u32_e32 v6, v7, v6
	s_waitcnt lgkmcnt(0)
	v_add3_u32 v6, v6, v8, v9
	v_add_co_u32_e64 v8, s[0:1], s14, v10
	v_addc_co_u32_e64 v9, s[0:1], v5, v11, s[0:1]
	v_mov_b32_e32 v7, v3
	global_atomic_add_x2 v[8:9], v[6:7], off
	s_branch .LBB10_40
.LBB10_43:
	s_mov_b64 s[0:1], 0
.LBB10_44:
	s_and_b64 vcc, exec, s[0:1]
	s_cbranch_vccz .LBB10_68
; %bb.45:
	s_waitcnt vmcnt(0)
	v_mov_b32_e32 v2, s13
	v_add_co_u32_e32 v5, vcc, s12, v1
	v_addc_co_u32_e32 v6, vcc, 0, v2, vcc
	v_add_co_u32_e32 v2, vcc, 0x1000, v5
	v_addc_co_u32_e32 v3, vcc, 0, v6, vcc
	v_add_co_u32_e32 v10, vcc, 0x2000, v5
	global_load_ushort v4, v1, s[12:13] offset:2048
	v_addc_co_u32_e32 v11, vcc, 0, v6, vcc
	global_load_ushort v5, v[2:3], off
	global_load_ushort v6, v[2:3], off offset:2048
	global_load_ushort v7, v[10:11], off
	global_load_ushort v9, v1, s[12:13]
	global_load_ushort v8, v[10:11], off offset:2048
	s_cmp_eq_u32 s20, 0
	s_cselect_b64 s[0:1], -1, 0
	s_cmp_eq_u32 s21, 16
	s_cselect_b64 s[2:3], -1, 0
	s_and_b64 s[2:3], s[0:1], s[2:3]
	v_mov_b32_e32 v2, 0
	v_lshlrev_b32_e32 v1, 2, v0
	s_mov_b64 s[0:1], -1
	s_and_b64 vcc, exec, s[2:3]
	ds_write2st64_b32 v1, v2, v2 offset1:16
	s_waitcnt lgkmcnt(0)
	s_cbranch_vccnz .LBB10_65
; %bb.46:
	s_cmp_gt_u32 s21, s20
	s_cselect_b64 s[0:1], -1, 0
	s_and_b64 vcc, exec, s[0:1]
	s_barrier
	s_cbranch_vccz .LBB10_59
; %bb.47:
	v_and_b32_e32 v2, 3, v0
	v_lshlrev_b32_e32 v2, 2, v2
	s_sub_i32 s2, s21, s20
	s_waitcnt vmcnt(1)
	v_xor_b32_e32 v3, -1, v9
	v_mov_b32_e32 v10, 1
	s_mov_b32 s3, s2
	v_mov_b32_e32 v11, v2
	s_mov_b32 s4, s20
.LBB10_48:                              ; =>This Inner Loop Header: Depth=1
	s_min_u32 s5, s3, 8
	v_lshrrev_b32_sdwa v12, s4, v3 dst_sel:DWORD dst_unused:UNUSED_PAD src0_sel:DWORD src1_sel:WORD_0
	v_bfe_u32 v12, v12, 0, s5
	v_lshl_add_u32 v12, v12, 4, v11
	ds_add_u32 v12, v10
	s_add_i32 s4, s4, 8
	s_add_i32 s3, s3, -8
	s_cmp_ge_u32 s4, s21
	v_add_u32_e32 v11, 0x1000, v11
	s_cbranch_scc0 .LBB10_48
; %bb.49:
	v_xor_b32_e32 v3, -1, v4
	v_mov_b32_e32 v10, 1
	s_mov_b32 s3, s2
	v_mov_b32_e32 v11, v2
	s_mov_b32 s4, s20
.LBB10_50:                              ; =>This Inner Loop Header: Depth=1
	s_min_u32 s5, s3, 8
	v_lshrrev_b32_sdwa v12, s4, v3 dst_sel:DWORD dst_unused:UNUSED_PAD src0_sel:DWORD src1_sel:WORD_0
	v_bfe_u32 v12, v12, 0, s5
	v_lshl_add_u32 v12, v12, 4, v11
	ds_add_u32 v12, v10
	s_add_i32 s4, s4, 8
	s_add_i32 s3, s3, -8
	s_cmp_lt_u32 s4, s21
	v_add_u32_e32 v11, 0x1000, v11
	s_cbranch_scc1 .LBB10_50
; %bb.51:
	v_xor_b32_e32 v3, -1, v5
	v_mov_b32_e32 v10, 1
	s_mov_b32 s3, s2
	v_mov_b32_e32 v11, v2
	s_mov_b32 s4, s20
.LBB10_52:                              ; =>This Inner Loop Header: Depth=1
	s_min_u32 s5, s3, 8
	v_lshrrev_b32_sdwa v12, s4, v3 dst_sel:DWORD dst_unused:UNUSED_PAD src0_sel:DWORD src1_sel:WORD_0
	v_bfe_u32 v12, v12, 0, s5
	v_lshl_add_u32 v12, v12, 4, v11
	ds_add_u32 v12, v10
	s_add_i32 s4, s4, 8
	s_add_i32 s3, s3, -8
	s_cmp_lt_u32 s4, s21
	v_add_u32_e32 v11, 0x1000, v11
	s_cbranch_scc1 .LBB10_52
	;; [unrolled: 17-line block ×4, first 2 shown]
; %bb.57:
	s_waitcnt vmcnt(0)
	v_xor_b32_e32 v3, -1, v8
	v_mov_b32_e32 v10, 1
	s_mov_b32 s3, s20
.LBB10_58:                              ; =>This Inner Loop Header: Depth=1
	s_min_u32 s4, s2, 8
	v_lshrrev_b32_sdwa v11, s3, v3 dst_sel:DWORD dst_unused:UNUSED_PAD src0_sel:DWORD src1_sel:WORD_0
	v_bfe_u32 v11, v11, 0, s4
	v_lshl_add_u32 v11, v11, 4, v2
	ds_add_u32 v11, v10
	s_add_i32 s3, s3, 8
	s_add_i32 s2, s2, -8
	s_cmp_lt_u32 s3, s21
	v_add_u32_e32 v2, 0x1000, v2
	s_cbranch_scc1 .LBB10_58
.LBB10_59:
	s_and_b64 vcc, exec, s[0:1]
	s_waitcnt lgkmcnt(0)
	s_barrier
	s_cbranch_vccz .LBB10_64
; %bb.60:
	s_movk_i32 s0, 0x100
	v_cmp_gt_u32_e32 vcc, s0, v0
	v_lshlrev_b32_e32 v10, 4, v0
	v_mov_b32_e32 v3, 0
	v_mov_b32_e32 v2, v0
	s_branch .LBB10_62
.LBB10_61:                              ;   in Loop: Header=BB10_62 Depth=1
	s_or_b64 exec, exec, s[2:3]
	s_add_i32 s20, s20, 8
	v_add_u32_e32 v2, 0x100, v2
	s_cmp_ge_u32 s20, s21
	v_add_u32_e32 v10, 0x1000, v10
	s_cbranch_scc1 .LBB10_64
.LBB10_62:                              ; =>This Inner Loop Header: Depth=1
	s_and_saveexec_b64 s[2:3], vcc
	s_cbranch_execz .LBB10_61
; %bb.63:                               ;   in Loop: Header=BB10_62 Depth=1
	ds_read2_b32 v[12:13], v10 offset1:1
	ds_read2_b32 v[14:15], v10 offset0:2 offset1:3
	v_lshlrev_b64 v[16:17], 3, v[2:3]
	v_mov_b32_e32 v11, s15
	s_waitcnt lgkmcnt(1)
	v_add_u32_e32 v12, v13, v12
	s_waitcnt lgkmcnt(0)
	v_add3_u32 v12, v12, v14, v15
	v_add_co_u32_e64 v14, s[0:1], s14, v16
	v_addc_co_u32_e64 v15, s[0:1], v11, v17, s[0:1]
	v_mov_b32_e32 v13, v3
	global_atomic_add_x2 v[14:15], v[12:13], off
	s_branch .LBB10_61
.LBB10_64:
	s_mov_b64 s[0:1], 0
.LBB10_65:
	s_and_b64 vcc, exec, s[0:1]
	s_cbranch_vccz .LBB10_68
; %bb.66:
	s_waitcnt vmcnt(1)
	v_xor_b32_e32 v2, -1, v9
	v_and_b32_e32 v2, 0xffff, v2
	v_xor_b32_e32 v3, -1, v4
	v_xor_b32_e32 v4, -1, v5
	;; [unrolled: 1-line block ×4, first 2 shown]
	s_waitcnt vmcnt(0)
	v_xor_b32_e32 v7, -1, v8
	v_and_b32_e32 v8, 3, v0
	v_lshlrev_b32_e32 v9, 2, v2
	s_movk_i32 s0, 0x3fc
	v_and_or_b32 v9, v9, s0, v8
	v_bfe_u32 v2, v2, 8, 8
	v_lshlrev_b32_e32 v9, 2, v9
	v_mov_b32_e32 v10, 1
	v_lshl_or_b32 v2, v2, 2, v8
	s_barrier
	ds_add_u32 v9, v10
	v_lshlrev_b32_e32 v2, 2, v2
	ds_add_u32 v2, v10 offset:4096
	v_and_b32_e32 v2, 0xffff, v3
	v_lshlrev_b32_e32 v3, 2, v2
	v_and_or_b32 v3, v3, s0, v8
	v_bfe_u32 v2, v2, 8, 8
	v_lshlrev_b32_e32 v3, 2, v3
	v_lshl_or_b32 v2, v2, 2, v8
	ds_add_u32 v3, v10
	v_lshlrev_b32_e32 v2, 2, v2
	ds_add_u32 v2, v10 offset:4096
	v_and_b32_e32 v2, 0xffff, v4
	v_lshlrev_b32_e32 v3, 2, v2
	v_and_or_b32 v3, v3, s0, v8
	v_bfe_u32 v2, v2, 8, 8
	v_lshlrev_b32_e32 v3, 2, v3
	v_lshl_or_b32 v2, v2, 2, v8
	;; [unrolled: 9-line block ×5, first 2 shown]
	ds_add_u32 v3, v10
	v_lshlrev_b32_e32 v2, 2, v2
	ds_add_u32 v2, v10 offset:4096
	s_movk_i32 s0, 0x100
	v_cmp_gt_u32_e32 vcc, s0, v0
	s_waitcnt lgkmcnt(0)
	s_barrier
	s_and_saveexec_b64 s[0:1], vcc
	s_cbranch_execz .LBB10_68
; %bb.67:
	v_mad_u32_u24 v6, v0, 12, v1
	ds_read2_b32 v[2:3], v6 offset1:1
	ds_read2_b32 v[4:5], v6 offset0:2 offset1:3
	v_lshlrev_b32_e32 v7, 3, v0
	v_mov_b32_e32 v1, 0
	v_add_u32_e32 v8, 0x1000, v6
	s_waitcnt lgkmcnt(1)
	v_add_u32_e32 v0, v3, v2
	s_waitcnt lgkmcnt(0)
	v_add3_u32 v0, v0, v4, v5
	global_atomic_add_x2 v7, v[0:1], s[14:15]
	v_add_u32_e32 v0, 0x1008, v6
	ds_read2_b32 v[2:3], v8 offset1:1
	ds_read2_b32 v[4:5], v0 offset1:1
	s_waitcnt lgkmcnt(1)
	v_add_u32_e32 v0, v3, v2
	s_waitcnt lgkmcnt(0)
	v_add3_u32 v0, v0, v4, v5
	global_atomic_add_x2 v7, v[0:1], s[14:15] offset:2048
.LBB10_68:
	s_endpgm
	.section	.rodata,"a",@progbits
	.p2align	6, 0x0
	.amdhsa_kernel _ZN7rocprim17ROCPRIM_304000_NS6detail26onesweep_histograms_kernelINS1_34wrapped_radix_sort_onesweep_configINS0_14default_configEtN2at4cuda3cub6detail10OpaqueTypeILi8EEEEELb1EPKtmNS0_19identity_decomposerEEEvT1_PT2_SG_SG_T3_jj
		.amdhsa_group_segment_fixed_size 8192
		.amdhsa_private_segment_fixed_size 0
		.amdhsa_kernarg_size 44
		.amdhsa_user_sgpr_count 6
		.amdhsa_user_sgpr_private_segment_buffer 1
		.amdhsa_user_sgpr_dispatch_ptr 0
		.amdhsa_user_sgpr_queue_ptr 0
		.amdhsa_user_sgpr_kernarg_segment_ptr 1
		.amdhsa_user_sgpr_dispatch_id 0
		.amdhsa_user_sgpr_flat_scratch_init 0
		.amdhsa_user_sgpr_kernarg_preload_length 0
		.amdhsa_user_sgpr_kernarg_preload_offset 0
		.amdhsa_user_sgpr_private_segment_size 0
		.amdhsa_uses_dynamic_stack 0
		.amdhsa_system_sgpr_private_segment_wavefront_offset 0
		.amdhsa_system_sgpr_workgroup_id_x 1
		.amdhsa_system_sgpr_workgroup_id_y 0
		.amdhsa_system_sgpr_workgroup_id_z 0
		.amdhsa_system_sgpr_workgroup_info 0
		.amdhsa_system_vgpr_workitem_id 0
		.amdhsa_next_free_vgpr 18
		.amdhsa_next_free_sgpr 26
		.amdhsa_accum_offset 20
		.amdhsa_reserve_vcc 1
		.amdhsa_reserve_flat_scratch 0
		.amdhsa_float_round_mode_32 0
		.amdhsa_float_round_mode_16_64 0
		.amdhsa_float_denorm_mode_32 3
		.amdhsa_float_denorm_mode_16_64 3
		.amdhsa_dx10_clamp 1
		.amdhsa_ieee_mode 1
		.amdhsa_fp16_overflow 0
		.amdhsa_tg_split 0
		.amdhsa_exception_fp_ieee_invalid_op 0
		.amdhsa_exception_fp_denorm_src 0
		.amdhsa_exception_fp_ieee_div_zero 0
		.amdhsa_exception_fp_ieee_overflow 0
		.amdhsa_exception_fp_ieee_underflow 0
		.amdhsa_exception_fp_ieee_inexact 0
		.amdhsa_exception_int_div_zero 0
	.end_amdhsa_kernel
	.section	.text._ZN7rocprim17ROCPRIM_304000_NS6detail26onesweep_histograms_kernelINS1_34wrapped_radix_sort_onesweep_configINS0_14default_configEtN2at4cuda3cub6detail10OpaqueTypeILi8EEEEELb1EPKtmNS0_19identity_decomposerEEEvT1_PT2_SG_SG_T3_jj,"axG",@progbits,_ZN7rocprim17ROCPRIM_304000_NS6detail26onesweep_histograms_kernelINS1_34wrapped_radix_sort_onesweep_configINS0_14default_configEtN2at4cuda3cub6detail10OpaqueTypeILi8EEEEELb1EPKtmNS0_19identity_decomposerEEEvT1_PT2_SG_SG_T3_jj,comdat
.Lfunc_end10:
	.size	_ZN7rocprim17ROCPRIM_304000_NS6detail26onesweep_histograms_kernelINS1_34wrapped_radix_sort_onesweep_configINS0_14default_configEtN2at4cuda3cub6detail10OpaqueTypeILi8EEEEELb1EPKtmNS0_19identity_decomposerEEEvT1_PT2_SG_SG_T3_jj, .Lfunc_end10-_ZN7rocprim17ROCPRIM_304000_NS6detail26onesweep_histograms_kernelINS1_34wrapped_radix_sort_onesweep_configINS0_14default_configEtN2at4cuda3cub6detail10OpaqueTypeILi8EEEEELb1EPKtmNS0_19identity_decomposerEEEvT1_PT2_SG_SG_T3_jj
                                        ; -- End function
	.section	.AMDGPU.csdata,"",@progbits
; Kernel info:
; codeLenInByte = 2684
; NumSgprs: 30
; NumVgprs: 18
; NumAgprs: 0
; TotalNumVgprs: 18
; ScratchSize: 0
; MemoryBound: 0
; FloatMode: 240
; IeeeMode: 1
; LDSByteSize: 8192 bytes/workgroup (compile time only)
; SGPRBlocks: 3
; VGPRBlocks: 2
; NumSGPRsForWavesPerEU: 30
; NumVGPRsForWavesPerEU: 18
; AccumOffset: 20
; Occupancy: 8
; WaveLimiterHint : 1
; COMPUTE_PGM_RSRC2:SCRATCH_EN: 0
; COMPUTE_PGM_RSRC2:USER_SGPR: 6
; COMPUTE_PGM_RSRC2:TRAP_HANDLER: 0
; COMPUTE_PGM_RSRC2:TGID_X_EN: 1
; COMPUTE_PGM_RSRC2:TGID_Y_EN: 0
; COMPUTE_PGM_RSRC2:TGID_Z_EN: 0
; COMPUTE_PGM_RSRC2:TIDIG_COMP_CNT: 0
; COMPUTE_PGM_RSRC3_GFX90A:ACCUM_OFFSET: 4
; COMPUTE_PGM_RSRC3_GFX90A:TG_SPLIT: 0
	.section	.text._ZN7rocprim17ROCPRIM_304000_NS6detail31onesweep_scan_histograms_kernelINS1_34wrapped_radix_sort_onesweep_configINS0_14default_configEtN2at4cuda3cub6detail10OpaqueTypeILi8EEEEEmEEvPT0_,"axG",@progbits,_ZN7rocprim17ROCPRIM_304000_NS6detail31onesweep_scan_histograms_kernelINS1_34wrapped_radix_sort_onesweep_configINS0_14default_configEtN2at4cuda3cub6detail10OpaqueTypeILi8EEEEEmEEvPT0_,comdat
	.protected	_ZN7rocprim17ROCPRIM_304000_NS6detail31onesweep_scan_histograms_kernelINS1_34wrapped_radix_sort_onesweep_configINS0_14default_configEtN2at4cuda3cub6detail10OpaqueTypeILi8EEEEEmEEvPT0_ ; -- Begin function _ZN7rocprim17ROCPRIM_304000_NS6detail31onesweep_scan_histograms_kernelINS1_34wrapped_radix_sort_onesweep_configINS0_14default_configEtN2at4cuda3cub6detail10OpaqueTypeILi8EEEEEmEEvPT0_
	.globl	_ZN7rocprim17ROCPRIM_304000_NS6detail31onesweep_scan_histograms_kernelINS1_34wrapped_radix_sort_onesweep_configINS0_14default_configEtN2at4cuda3cub6detail10OpaqueTypeILi8EEEEEmEEvPT0_
	.p2align	8
	.type	_ZN7rocprim17ROCPRIM_304000_NS6detail31onesweep_scan_histograms_kernelINS1_34wrapped_radix_sort_onesweep_configINS0_14default_configEtN2at4cuda3cub6detail10OpaqueTypeILi8EEEEEmEEvPT0_,@function
_ZN7rocprim17ROCPRIM_304000_NS6detail31onesweep_scan_histograms_kernelINS1_34wrapped_radix_sort_onesweep_configINS0_14default_configEtN2at4cuda3cub6detail10OpaqueTypeILi8EEEEEmEEvPT0_: ; @_ZN7rocprim17ROCPRIM_304000_NS6detail31onesweep_scan_histograms_kernelINS1_34wrapped_radix_sort_onesweep_configINS0_14default_configEtN2at4cuda3cub6detail10OpaqueTypeILi8EEEEEmEEvPT0_
; %bb.0:
	s_load_dwordx2 s[0:1], s[4:5], 0x0
	s_lshl_b32 s2, s6, 8
	s_mov_b32 s3, 0
	s_lshl_b64 s[2:3], s[2:3], 3
	v_lshlrev_b32_e32 v5, 3, v0
	s_waitcnt lgkmcnt(0)
	s_add_u32 s14, s0, s2
	s_movk_i32 s0, 0x100
	s_addc_u32 s15, s1, s3
	v_cmp_gt_u32_e32 vcc, s0, v0
                                        ; implicit-def: $vgpr2_vgpr3
	s_and_saveexec_b64 s[0:1], vcc
	s_cbranch_execz .LBB11_2
; %bb.1:
	global_load_dwordx2 v[2:3], v5, s[14:15]
.LBB11_2:
	s_or_b64 exec, exec, s[0:1]
	v_mbcnt_lo_u32_b32 v1, -1, 0
	s_waitcnt vmcnt(0)
	v_mov_b32_dpp v4, v2 row_shr:1 row_mask:0xf bank_mask:0xf
	v_mbcnt_hi_u32_b32 v6, -1, v1
	v_add_co_u32_e64 v4, s[0:1], v2, v4
	v_and_b32_e32 v1, 15, v6
	v_addc_co_u32_e64 v8, s[0:1], 0, v3, s[0:1]
	v_mov_b32_dpp v7, v3 row_shr:1 row_mask:0xf bank_mask:0xf
	v_add_co_u32_e64 v9, s[0:1], 0, v4
	v_cmp_eq_u32_e64 s[2:3], 0, v1
	v_addc_co_u32_e64 v7, s[0:1], v7, v8, s[0:1]
	v_cndmask_b32_e64 v4, v4, v2, s[2:3]
	v_cndmask_b32_e64 v7, v7, v3, s[2:3]
	v_cndmask_b32_e64 v8, v9, v2, s[2:3]
	v_mov_b32_dpp v9, v4 row_shr:2 row_mask:0xf bank_mask:0xf
	v_mov_b32_dpp v10, v7 row_shr:2 row_mask:0xf bank_mask:0xf
	v_add_co_u32_e64 v9, s[0:1], v9, v8
	v_cmp_lt_u32_e64 s[4:5], 1, v1
	v_addc_co_u32_e64 v10, s[0:1], v10, v7, s[0:1]
	v_cndmask_b32_e64 v4, v4, v9, s[4:5]
	v_cndmask_b32_e64 v7, v7, v10, s[4:5]
	v_cndmask_b32_e64 v8, v8, v9, s[4:5]
	v_mov_b32_dpp v9, v4 row_shr:4 row_mask:0xf bank_mask:0xf
	v_mov_b32_dpp v10, v7 row_shr:4 row_mask:0xf bank_mask:0xf
	v_add_co_u32_e64 v9, s[0:1], v9, v8
	v_cmp_lt_u32_e64 s[6:7], 3, v1
	;; [unrolled: 8-line block ×3, first 2 shown]
	v_addc_co_u32_e64 v10, s[0:1], v10, v7, s[0:1]
	v_cndmask_b32_e64 v11, v4, v9, s[8:9]
	v_cndmask_b32_e64 v1, v7, v10, s[8:9]
	v_cndmask_b32_e64 v4, v8, v9, s[8:9]
	v_mov_b32_dpp v7, v11 row_bcast:15 row_mask:0xf bank_mask:0xf
	v_mov_b32_dpp v8, v1 row_bcast:15 row_mask:0xf bank_mask:0xf
	v_and_b32_e32 v10, 16, v6
	v_add_co_u32_e64 v7, s[0:1], v7, v4
	v_addc_co_u32_e64 v9, s[0:1], v8, v1, s[0:1]
	v_cmp_eq_u32_e64 s[10:11], 0, v10
	v_cndmask_b32_e64 v10, v9, v1, s[10:11]
	v_cndmask_b32_e64 v8, v7, v11, s[10:11]
	v_cmp_eq_u32_e64 s[0:1], 0, v6
	v_mov_b32_dpp v10, v10 row_bcast:31 row_mask:0xf bank_mask:0xf
	v_mov_b32_dpp v8, v8 row_bcast:31 row_mask:0xf bank_mask:0xf
	v_cmp_ne_u32_e64 s[12:13], 0, v6
	s_and_saveexec_b64 s[16:17], s[12:13]
; %bb.3:
	v_cndmask_b32_e64 v1, v9, v1, s[10:11]
	v_cndmask_b32_e64 v2, v7, v4, s[10:11]
	v_cmp_lt_u32_e64 s[10:11], 31, v6
	v_cndmask_b32_e64 v4, 0, v8, s[10:11]
	v_cndmask_b32_e64 v3, 0, v10, s[10:11]
	v_add_co_u32_e64 v2, s[10:11], v4, v2
	v_addc_co_u32_e64 v3, s[10:11], v3, v1, s[10:11]
; %bb.4:
	s_or_b64 exec, exec, s[16:17]
	v_and_b32_e32 v1, 63, v0
	v_lshrrev_b32_e32 v4, 6, v0
	v_cmp_eq_u32_e64 s[10:11], 63, v1
	s_and_saveexec_b64 s[12:13], s[10:11]
	s_cbranch_execz .LBB11_6
; %bb.5:
	v_lshlrev_b32_e32 v1, 3, v4
	ds_write_b64 v1, v[2:3]
.LBB11_6:
	s_or_b64 exec, exec, s[12:13]
	v_cmp_gt_u32_e64 s[10:11], 16, v0
	s_waitcnt lgkmcnt(0)
	s_barrier
	s_and_saveexec_b64 s[12:13], s[10:11]
	s_cbranch_execz .LBB11_8
; %bb.7:
	ds_read_b64 v[8:9], v5
	s_waitcnt lgkmcnt(0)
	s_nop 0
	v_mov_b32_dpp v1, v8 row_shr:1 row_mask:0xf bank_mask:0xf
	v_add_co_u32_e64 v1, s[10:11], v8, v1
	v_addc_co_u32_e64 v10, s[10:11], 0, v9, s[10:11]
	v_mov_b32_dpp v7, v9 row_shr:1 row_mask:0xf bank_mask:0xf
	v_add_co_u32_e64 v11, s[10:11], 0, v1
	v_addc_co_u32_e64 v7, s[10:11], v7, v10, s[10:11]
	v_cndmask_b32_e64 v1, v1, v8, s[2:3]
	v_cndmask_b32_e64 v7, v7, v9, s[2:3]
	;; [unrolled: 1-line block ×3, first 2 shown]
	v_mov_b32_dpp v8, v1 row_shr:2 row_mask:0xf bank_mask:0xf
	v_add_co_u32_e64 v8, s[2:3], v9, v8
	v_addc_co_u32_e64 v11, s[2:3], 0, v7, s[2:3]
	v_mov_b32_dpp v10, v7 row_shr:2 row_mask:0xf bank_mask:0xf
	v_add_co_u32_e64 v12, s[2:3], 0, v8
	v_cndmask_b32_e64 v1, v1, v8, s[4:5]
	v_addc_co_u32_e64 v10, s[2:3], v11, v10, s[2:3]
	v_cndmask_b32_e64 v8, v9, v12, s[4:5]
	v_mov_b32_dpp v9, v1 row_shr:4 row_mask:0xf bank_mask:0xf
	v_cndmask_b32_e64 v7, v7, v10, s[4:5]
	v_add_co_u32_e64 v9, s[2:3], v8, v9
	v_addc_co_u32_e64 v11, s[2:3], 0, v7, s[2:3]
	v_mov_b32_dpp v10, v7 row_shr:4 row_mask:0xf bank_mask:0xf
	v_add_co_u32_e64 v12, s[2:3], 0, v9
	v_addc_co_u32_e64 v10, s[2:3], v11, v10, s[2:3]
	v_cndmask_b32_e64 v1, v1, v9, s[6:7]
	v_cndmask_b32_e64 v7, v7, v10, s[6:7]
	;; [unrolled: 1-line block ×3, first 2 shown]
	v_mov_b32_dpp v1, v1 row_shr:8 row_mask:0xf bank_mask:0xf
	v_mov_b32_dpp v9, v7 row_shr:8 row_mask:0xf bank_mask:0xf
	v_cndmask_b32_e64 v1, 0, v1, s[8:9]
	v_cndmask_b32_e64 v9, 0, v9, s[8:9]
	v_add_co_u32_e64 v8, s[2:3], v1, v8
	v_addc_co_u32_e64 v9, s[2:3], v9, v7, s[2:3]
	ds_write_b64 v5, v[8:9]
.LBB11_8:
	s_or_b64 exec, exec, s[12:13]
	v_cmp_lt_u32_e64 s[2:3], 63, v0
	v_pk_mov_b32 v[0:1], 0, 0
	s_waitcnt lgkmcnt(0)
	s_barrier
	s_and_saveexec_b64 s[4:5], s[2:3]
	s_cbranch_execz .LBB11_10
; %bb.9:
	v_lshl_add_u32 v0, v4, 3, -8
	ds_read_b64 v[0:1], v0
.LBB11_10:
	s_or_b64 exec, exec, s[4:5]
	s_waitcnt lgkmcnt(0)
	v_add_co_u32_e64 v2, s[2:3], v0, v2
	v_addc_co_u32_e64 v3, s[2:3], v1, v3, s[2:3]
	v_add_u32_e32 v4, -1, v6
	v_and_b32_e32 v7, 64, v6
	v_cmp_lt_i32_e64 s[2:3], v4, v7
	v_cndmask_b32_e64 v4, v4, v6, s[2:3]
	v_lshlrev_b32_e32 v4, 2, v4
	ds_bpermute_b32 v2, v4, v2
	ds_bpermute_b32 v3, v4, v3
	s_and_saveexec_b64 s[2:3], vcc
	s_cbranch_execz .LBB11_12
; %bb.11:
	s_waitcnt lgkmcnt(0)
	v_cndmask_b32_e64 v1, v3, v1, s[0:1]
	v_cndmask_b32_e64 v0, v2, v0, s[0:1]
	global_store_dwordx2 v5, v[0:1], s[14:15]
.LBB11_12:
	s_endpgm
	.section	.rodata,"a",@progbits
	.p2align	6, 0x0
	.amdhsa_kernel _ZN7rocprim17ROCPRIM_304000_NS6detail31onesweep_scan_histograms_kernelINS1_34wrapped_radix_sort_onesweep_configINS0_14default_configEtN2at4cuda3cub6detail10OpaqueTypeILi8EEEEEmEEvPT0_
		.amdhsa_group_segment_fixed_size 128
		.amdhsa_private_segment_fixed_size 0
		.amdhsa_kernarg_size 8
		.amdhsa_user_sgpr_count 6
		.amdhsa_user_sgpr_private_segment_buffer 1
		.amdhsa_user_sgpr_dispatch_ptr 0
		.amdhsa_user_sgpr_queue_ptr 0
		.amdhsa_user_sgpr_kernarg_segment_ptr 1
		.amdhsa_user_sgpr_dispatch_id 0
		.amdhsa_user_sgpr_flat_scratch_init 0
		.amdhsa_user_sgpr_kernarg_preload_length 0
		.amdhsa_user_sgpr_kernarg_preload_offset 0
		.amdhsa_user_sgpr_private_segment_size 0
		.amdhsa_uses_dynamic_stack 0
		.amdhsa_system_sgpr_private_segment_wavefront_offset 0
		.amdhsa_system_sgpr_workgroup_id_x 1
		.amdhsa_system_sgpr_workgroup_id_y 0
		.amdhsa_system_sgpr_workgroup_id_z 0
		.amdhsa_system_sgpr_workgroup_info 0
		.amdhsa_system_vgpr_workitem_id 0
		.amdhsa_next_free_vgpr 13
		.amdhsa_next_free_sgpr 18
		.amdhsa_accum_offset 16
		.amdhsa_reserve_vcc 1
		.amdhsa_reserve_flat_scratch 0
		.amdhsa_float_round_mode_32 0
		.amdhsa_float_round_mode_16_64 0
		.amdhsa_float_denorm_mode_32 3
		.amdhsa_float_denorm_mode_16_64 3
		.amdhsa_dx10_clamp 1
		.amdhsa_ieee_mode 1
		.amdhsa_fp16_overflow 0
		.amdhsa_tg_split 0
		.amdhsa_exception_fp_ieee_invalid_op 0
		.amdhsa_exception_fp_denorm_src 0
		.amdhsa_exception_fp_ieee_div_zero 0
		.amdhsa_exception_fp_ieee_overflow 0
		.amdhsa_exception_fp_ieee_underflow 0
		.amdhsa_exception_fp_ieee_inexact 0
		.amdhsa_exception_int_div_zero 0
	.end_amdhsa_kernel
	.section	.text._ZN7rocprim17ROCPRIM_304000_NS6detail31onesweep_scan_histograms_kernelINS1_34wrapped_radix_sort_onesweep_configINS0_14default_configEtN2at4cuda3cub6detail10OpaqueTypeILi8EEEEEmEEvPT0_,"axG",@progbits,_ZN7rocprim17ROCPRIM_304000_NS6detail31onesweep_scan_histograms_kernelINS1_34wrapped_radix_sort_onesweep_configINS0_14default_configEtN2at4cuda3cub6detail10OpaqueTypeILi8EEEEEmEEvPT0_,comdat
.Lfunc_end11:
	.size	_ZN7rocprim17ROCPRIM_304000_NS6detail31onesweep_scan_histograms_kernelINS1_34wrapped_radix_sort_onesweep_configINS0_14default_configEtN2at4cuda3cub6detail10OpaqueTypeILi8EEEEEmEEvPT0_, .Lfunc_end11-_ZN7rocprim17ROCPRIM_304000_NS6detail31onesweep_scan_histograms_kernelINS1_34wrapped_radix_sort_onesweep_configINS0_14default_configEtN2at4cuda3cub6detail10OpaqueTypeILi8EEEEEmEEvPT0_
                                        ; -- End function
	.section	.AMDGPU.csdata,"",@progbits
; Kernel info:
; codeLenInByte = 1028
; NumSgprs: 22
; NumVgprs: 13
; NumAgprs: 0
; TotalNumVgprs: 13
; ScratchSize: 0
; MemoryBound: 0
; FloatMode: 240
; IeeeMode: 1
; LDSByteSize: 128 bytes/workgroup (compile time only)
; SGPRBlocks: 2
; VGPRBlocks: 1
; NumSGPRsForWavesPerEU: 22
; NumVGPRsForWavesPerEU: 13
; AccumOffset: 16
; Occupancy: 8
; WaveLimiterHint : 0
; COMPUTE_PGM_RSRC2:SCRATCH_EN: 0
; COMPUTE_PGM_RSRC2:USER_SGPR: 6
; COMPUTE_PGM_RSRC2:TRAP_HANDLER: 0
; COMPUTE_PGM_RSRC2:TGID_X_EN: 1
; COMPUTE_PGM_RSRC2:TGID_Y_EN: 0
; COMPUTE_PGM_RSRC2:TGID_Z_EN: 0
; COMPUTE_PGM_RSRC2:TIDIG_COMP_CNT: 0
; COMPUTE_PGM_RSRC3_GFX90A:ACCUM_OFFSET: 3
; COMPUTE_PGM_RSRC3_GFX90A:TG_SPLIT: 0
	.section	.text._ZN7rocprim17ROCPRIM_304000_NS6detail16transform_kernelINS1_24wrapped_transform_configINS0_14default_configEtEEtPKtPtNS0_8identityItEEEEvT1_mT2_T3_,"axG",@progbits,_ZN7rocprim17ROCPRIM_304000_NS6detail16transform_kernelINS1_24wrapped_transform_configINS0_14default_configEtEEtPKtPtNS0_8identityItEEEEvT1_mT2_T3_,comdat
	.protected	_ZN7rocprim17ROCPRIM_304000_NS6detail16transform_kernelINS1_24wrapped_transform_configINS0_14default_configEtEEtPKtPtNS0_8identityItEEEEvT1_mT2_T3_ ; -- Begin function _ZN7rocprim17ROCPRIM_304000_NS6detail16transform_kernelINS1_24wrapped_transform_configINS0_14default_configEtEEtPKtPtNS0_8identityItEEEEvT1_mT2_T3_
	.globl	_ZN7rocprim17ROCPRIM_304000_NS6detail16transform_kernelINS1_24wrapped_transform_configINS0_14default_configEtEEtPKtPtNS0_8identityItEEEEvT1_mT2_T3_
	.p2align	8
	.type	_ZN7rocprim17ROCPRIM_304000_NS6detail16transform_kernelINS1_24wrapped_transform_configINS0_14default_configEtEEtPKtPtNS0_8identityItEEEEvT1_mT2_T3_,@function
_ZN7rocprim17ROCPRIM_304000_NS6detail16transform_kernelINS1_24wrapped_transform_configINS0_14default_configEtEEtPKtPtNS0_8identityItEEEEvT1_mT2_T3_: ; @_ZN7rocprim17ROCPRIM_304000_NS6detail16transform_kernelINS1_24wrapped_transform_configINS0_14default_configEtEEtPKtPtNS0_8identityItEEEEvT1_mT2_T3_
; %bb.0:
	s_load_dword s7, s[4:5], 0x20
	s_load_dwordx4 s[0:3], s[4:5], 0x0
	s_load_dwordx2 s[16:17], s[4:5], 0x10
	s_lshl_b32 s4, s6, 9
	s_mov_b32 s5, 0
	s_waitcnt lgkmcnt(0)
	s_add_i32 s7, s7, -1
	s_lshl_b64 s[18:19], s[4:5], 1
	s_add_u32 s0, s0, s18
	s_addc_u32 s1, s1, s19
	v_lshlrev_b32_e32 v8, 1, v0
	v_mov_b32_e32 v1, s1
	v_add_co_u32_e32 v6, vcc, s0, v8
	s_cmp_lg_u32 s6, s7
	v_addc_co_u32_e32 v7, vcc, 0, v1, vcc
	s_cbranch_scc0 .LBB12_2
; %bb.1:
	global_load_ushort v2, v[6:7], off
	global_load_ushort v3, v[6:7], off offset:128
	global_load_ushort v4, v[6:7], off offset:256
	;; [unrolled: 1-line block ×7, first 2 shown]
	s_add_u32 s6, s16, s18
	s_addc_u32 s7, s17, s19
	s_mov_b64 s[20:21], -1
	s_waitcnt vmcnt(7)
	global_store_short v8, v2, s[6:7]
	s_waitcnt vmcnt(7)
	global_store_short v8, v3, s[6:7] offset:128
	s_waitcnt vmcnt(7)
	global_store_short v8, v4, s[6:7] offset:256
	;; [unrolled: 2-line block ×6, first 2 shown]
	s_cbranch_execz .LBB12_3
	s_branch .LBB12_32
.LBB12_2:
	s_mov_b64 s[20:21], 0
                                        ; implicit-def: $vgpr1
.LBB12_3:
	s_sub_i32 s14, s2, s4
	v_cmp_gt_u32_e32 vcc, s14, v0
                                        ; implicit-def: $vgpr2_vgpr3_vgpr4_vgpr5
	s_and_saveexec_b64 s[0:1], vcc
	s_cbranch_execz .LBB12_5
; %bb.4:
	global_load_ushort v2, v[6:7], off
.LBB12_5:
	s_or_b64 exec, exec, s[0:1]
	s_waitcnt vmcnt(7)
	v_or_b32_e32 v1, 64, v0
	v_cmp_gt_u32_e64 s[0:1], s14, v1
	s_and_saveexec_b64 s[2:3], s[0:1]
	s_cbranch_execz .LBB12_7
; %bb.6:
	global_load_ushort v1, v[6:7], off offset:128
	s_mov_b32 s4, 0x5040100
	s_waitcnt vmcnt(0)
	v_perm_b32 v2, v1, v2, s4
.LBB12_7:
	s_or_b64 exec, exec, s[2:3]
	v_or_b32_e32 v1, 0x80, v0
	v_cmp_gt_u32_e64 s[2:3], s14, v1
	s_and_saveexec_b64 s[4:5], s[2:3]
	s_cbranch_execz .LBB12_9
; %bb.8:
	global_load_ushort v1, v[6:7], off offset:256
	s_mov_b32 s6, 0xffff
	s_waitcnt vmcnt(0)
	v_bfi_b32 v3, s6, v1, v3
.LBB12_9:
	s_or_b64 exec, exec, s[4:5]
	v_or_b32_e32 v1, 0xc0, v0
	v_cmp_gt_u32_e64 s[4:5], s14, v1
	s_and_saveexec_b64 s[6:7], s[4:5]
	s_cbranch_execz .LBB12_11
; %bb.10:
	global_load_ushort v1, v[6:7], off offset:384
	s_mov_b32 s8, 0x5040100
	s_waitcnt vmcnt(0)
	v_perm_b32 v3, v1, v3, s8
.LBB12_11:
	s_or_b64 exec, exec, s[6:7]
	v_or_b32_e32 v1, 0x100, v0
	v_cmp_gt_u32_e64 s[6:7], s14, v1
	s_and_saveexec_b64 s[8:9], s[6:7]
	s_cbranch_execz .LBB12_13
; %bb.12:
	global_load_ushort v1, v[6:7], off offset:512
	s_mov_b32 s10, 0xffff
	s_waitcnt vmcnt(0)
	v_bfi_b32 v4, s10, v1, v4
.LBB12_13:
	s_or_b64 exec, exec, s[8:9]
	;; [unrolled: 22-line block ×3, first 2 shown]
	v_or_b32_e32 v0, 0x1c0, v0
	v_cmp_gt_u32_e64 s[12:13], s14, v0
	s_and_saveexec_b64 s[14:15], s[12:13]
	s_cbranch_execz .LBB12_19
; %bb.18:
	global_load_ushort v0, v[6:7], off offset:896
	s_mov_b32 s22, 0x5040100
	s_waitcnt vmcnt(0)
	v_perm_b32 v5, v0, v5, s22
.LBB12_19:
	s_or_b64 exec, exec, s[14:15]
	s_add_u32 s14, s16, s18
	s_addc_u32 s15, s17, s19
	v_mov_b32_e32 v1, s15
	v_add_co_u32_e64 v0, s[14:15], s14, v8
	v_addc_co_u32_e64 v1, s[14:15], 0, v1, s[14:15]
	s_and_saveexec_b64 s[14:15], vcc
	s_cbranch_execnz .LBB12_35
; %bb.20:
	s_or_b64 exec, exec, s[14:15]
	s_and_saveexec_b64 s[14:15], s[0:1]
	s_cbranch_execnz .LBB12_36
.LBB12_21:
	s_or_b64 exec, exec, s[14:15]
	s_mov_b32 s14, 0xffff
	s_and_saveexec_b64 s[0:1], s[2:3]
	s_cbranch_execz .LBB12_23
.LBB12_22:
	global_store_short v[0:1], v3, off offset:256
.LBB12_23:
	s_or_b64 exec, exec, s[0:1]
	s_waitcnt vmcnt(0)
	v_bfi_b32 v2, s14, v3, v3
	v_cndmask_b32_e64 v2, v2, v3, s[4:5]
	s_and_saveexec_b64 s[0:1], s[4:5]
	s_cbranch_execz .LBB12_25
; %bb.24:
	global_store_short_d16_hi v[0:1], v2, off offset:384
.LBB12_25:
	s_or_b64 exec, exec, s[0:1]
	s_mov_b32 s2, 0xffff
	v_cndmask_b32_e64 v2, v4, v4, s[6:7]
	s_and_saveexec_b64 s[0:1], s[6:7]
	s_cbranch_execz .LBB12_27
; %bb.26:
	global_store_short v[0:1], v2, off offset:512
.LBB12_27:
	s_or_b64 exec, exec, s[0:1]
	v_bfi_b32 v2, s2, v2, v4
	v_cndmask_b32_e64 v2, v2, v4, s[8:9]
	s_and_saveexec_b64 s[0:1], s[8:9]
	s_cbranch_execnz .LBB12_37
; %bb.28:
	s_or_b64 exec, exec, s[0:1]
	s_and_saveexec_b64 s[0:1], s[10:11]
	s_cbranch_execnz .LBB12_38
.LBB12_29:
	s_or_b64 exec, exec, s[0:1]
                                        ; implicit-def: $vgpr1
	s_and_saveexec_b64 s[0:1], s[12:13]
.LBB12_30:
	v_cndmask_b32_e64 v0, v5, v5, s[12:13]
	v_lshrrev_b32_e32 v1, 16, v0
	s_or_b64 s[20:21], s[20:21], exec
.LBB12_31:
	s_or_b64 exec, exec, s[0:1]
.LBB12_32:
	s_and_saveexec_b64 s[0:1], s[20:21]
	s_cbranch_execnz .LBB12_34
; %bb.33:
	s_endpgm
.LBB12_34:
	s_add_u32 s0, s16, s18
	s_addc_u32 s1, s17, s19
	s_waitcnt vmcnt(7)
	global_store_short v8, v1, s[0:1] offset:896
	s_endpgm
.LBB12_35:
	s_waitcnt vmcnt(0)
	global_store_short v[0:1], v2, off
	s_or_b64 exec, exec, s[14:15]
	s_and_saveexec_b64 s[14:15], s[0:1]
	s_cbranch_execz .LBB12_21
.LBB12_36:
	s_waitcnt vmcnt(0)
	global_store_short_d16_hi v[0:1], v2, off offset:128
	s_or_b64 exec, exec, s[14:15]
	s_mov_b32 s14, 0xffff
	s_and_saveexec_b64 s[0:1], s[2:3]
	s_cbranch_execnz .LBB12_22
	s_branch .LBB12_23
.LBB12_37:
	global_store_short_d16_hi v[0:1], v2, off offset:640
	s_or_b64 exec, exec, s[0:1]
	s_and_saveexec_b64 s[0:1], s[10:11]
	s_cbranch_execz .LBB12_29
.LBB12_38:
	v_cndmask_b32_e64 v2, v5, v5, s[10:11]
	global_store_short v[0:1], v2, off offset:768
	s_or_b64 exec, exec, s[0:1]
                                        ; implicit-def: $vgpr1
	s_and_saveexec_b64 s[0:1], s[12:13]
	s_cbranch_execnz .LBB12_30
	s_branch .LBB12_31
	.section	.rodata,"a",@progbits
	.p2align	6, 0x0
	.amdhsa_kernel _ZN7rocprim17ROCPRIM_304000_NS6detail16transform_kernelINS1_24wrapped_transform_configINS0_14default_configEtEEtPKtPtNS0_8identityItEEEEvT1_mT2_T3_
		.amdhsa_group_segment_fixed_size 0
		.amdhsa_private_segment_fixed_size 0
		.amdhsa_kernarg_size 288
		.amdhsa_user_sgpr_count 6
		.amdhsa_user_sgpr_private_segment_buffer 1
		.amdhsa_user_sgpr_dispatch_ptr 0
		.amdhsa_user_sgpr_queue_ptr 0
		.amdhsa_user_sgpr_kernarg_segment_ptr 1
		.amdhsa_user_sgpr_dispatch_id 0
		.amdhsa_user_sgpr_flat_scratch_init 0
		.amdhsa_user_sgpr_kernarg_preload_length 0
		.amdhsa_user_sgpr_kernarg_preload_offset 0
		.amdhsa_user_sgpr_private_segment_size 0
		.amdhsa_uses_dynamic_stack 0
		.amdhsa_system_sgpr_private_segment_wavefront_offset 0
		.amdhsa_system_sgpr_workgroup_id_x 1
		.amdhsa_system_sgpr_workgroup_id_y 0
		.amdhsa_system_sgpr_workgroup_id_z 0
		.amdhsa_system_sgpr_workgroup_info 0
		.amdhsa_system_vgpr_workitem_id 0
		.amdhsa_next_free_vgpr 12
		.amdhsa_next_free_sgpr 23
		.amdhsa_accum_offset 12
		.amdhsa_reserve_vcc 1
		.amdhsa_reserve_flat_scratch 0
		.amdhsa_float_round_mode_32 0
		.amdhsa_float_round_mode_16_64 0
		.amdhsa_float_denorm_mode_32 3
		.amdhsa_float_denorm_mode_16_64 3
		.amdhsa_dx10_clamp 1
		.amdhsa_ieee_mode 1
		.amdhsa_fp16_overflow 0
		.amdhsa_tg_split 0
		.amdhsa_exception_fp_ieee_invalid_op 0
		.amdhsa_exception_fp_denorm_src 0
		.amdhsa_exception_fp_ieee_div_zero 0
		.amdhsa_exception_fp_ieee_overflow 0
		.amdhsa_exception_fp_ieee_underflow 0
		.amdhsa_exception_fp_ieee_inexact 0
		.amdhsa_exception_int_div_zero 0
	.end_amdhsa_kernel
	.section	.text._ZN7rocprim17ROCPRIM_304000_NS6detail16transform_kernelINS1_24wrapped_transform_configINS0_14default_configEtEEtPKtPtNS0_8identityItEEEEvT1_mT2_T3_,"axG",@progbits,_ZN7rocprim17ROCPRIM_304000_NS6detail16transform_kernelINS1_24wrapped_transform_configINS0_14default_configEtEEtPKtPtNS0_8identityItEEEEvT1_mT2_T3_,comdat
.Lfunc_end12:
	.size	_ZN7rocprim17ROCPRIM_304000_NS6detail16transform_kernelINS1_24wrapped_transform_configINS0_14default_configEtEEtPKtPtNS0_8identityItEEEEvT1_mT2_T3_, .Lfunc_end12-_ZN7rocprim17ROCPRIM_304000_NS6detail16transform_kernelINS1_24wrapped_transform_configINS0_14default_configEtEEtPKtPtNS0_8identityItEEEEvT1_mT2_T3_
                                        ; -- End function
	.section	.AMDGPU.csdata,"",@progbits
; Kernel info:
; codeLenInByte = 1036
; NumSgprs: 27
; NumVgprs: 12
; NumAgprs: 0
; TotalNumVgprs: 12
; ScratchSize: 0
; MemoryBound: 0
; FloatMode: 240
; IeeeMode: 1
; LDSByteSize: 0 bytes/workgroup (compile time only)
; SGPRBlocks: 3
; VGPRBlocks: 1
; NumSGPRsForWavesPerEU: 27
; NumVGPRsForWavesPerEU: 12
; AccumOffset: 12
; Occupancy: 8
; WaveLimiterHint : 1
; COMPUTE_PGM_RSRC2:SCRATCH_EN: 0
; COMPUTE_PGM_RSRC2:USER_SGPR: 6
; COMPUTE_PGM_RSRC2:TRAP_HANDLER: 0
; COMPUTE_PGM_RSRC2:TGID_X_EN: 1
; COMPUTE_PGM_RSRC2:TGID_Y_EN: 0
; COMPUTE_PGM_RSRC2:TGID_Z_EN: 0
; COMPUTE_PGM_RSRC2:TIDIG_COMP_CNT: 0
; COMPUTE_PGM_RSRC3_GFX90A:ACCUM_OFFSET: 2
; COMPUTE_PGM_RSRC3_GFX90A:TG_SPLIT: 0
	.section	.text._ZN7rocprim17ROCPRIM_304000_NS6detail16transform_kernelINS1_24wrapped_transform_configINS0_14default_configEN2at4cuda3cub6detail10OpaqueTypeILi8EEEEESA_PKSA_PSA_NS0_8identityISA_EEEEvT1_mT2_T3_,"axG",@progbits,_ZN7rocprim17ROCPRIM_304000_NS6detail16transform_kernelINS1_24wrapped_transform_configINS0_14default_configEN2at4cuda3cub6detail10OpaqueTypeILi8EEEEESA_PKSA_PSA_NS0_8identityISA_EEEEvT1_mT2_T3_,comdat
	.protected	_ZN7rocprim17ROCPRIM_304000_NS6detail16transform_kernelINS1_24wrapped_transform_configINS0_14default_configEN2at4cuda3cub6detail10OpaqueTypeILi8EEEEESA_PKSA_PSA_NS0_8identityISA_EEEEvT1_mT2_T3_ ; -- Begin function _ZN7rocprim17ROCPRIM_304000_NS6detail16transform_kernelINS1_24wrapped_transform_configINS0_14default_configEN2at4cuda3cub6detail10OpaqueTypeILi8EEEEESA_PKSA_PSA_NS0_8identityISA_EEEEvT1_mT2_T3_
	.globl	_ZN7rocprim17ROCPRIM_304000_NS6detail16transform_kernelINS1_24wrapped_transform_configINS0_14default_configEN2at4cuda3cub6detail10OpaqueTypeILi8EEEEESA_PKSA_PSA_NS0_8identityISA_EEEEvT1_mT2_T3_
	.p2align	8
	.type	_ZN7rocprim17ROCPRIM_304000_NS6detail16transform_kernelINS1_24wrapped_transform_configINS0_14default_configEN2at4cuda3cub6detail10OpaqueTypeILi8EEEEESA_PKSA_PSA_NS0_8identityISA_EEEEvT1_mT2_T3_,@function
_ZN7rocprim17ROCPRIM_304000_NS6detail16transform_kernelINS1_24wrapped_transform_configINS0_14default_configEN2at4cuda3cub6detail10OpaqueTypeILi8EEEEESA_PKSA_PSA_NS0_8identityISA_EEEEvT1_mT2_T3_: ; @_ZN7rocprim17ROCPRIM_304000_NS6detail16transform_kernelINS1_24wrapped_transform_configINS0_14default_configEN2at4cuda3cub6detail10OpaqueTypeILi8EEEEESA_PKSA_PSA_NS0_8identityISA_EEEEvT1_mT2_T3_
; %bb.0:
	s_load_dword s7, s[4:5], 0x20
	s_load_dwordx4 s[0:3], s[4:5], 0x0
	s_load_dwordx2 s[8:9], s[4:5], 0x10
	s_lshl_b32 s10, s6, 9
	s_mov_b32 s11, 0
	s_waitcnt lgkmcnt(0)
	s_add_i32 s7, s7, -1
	s_lshl_b64 s[4:5], s[10:11], 3
	s_add_u32 s0, s0, s4
	s_addc_u32 s1, s1, s5
	v_lshlrev_b32_e32 v1, 3, v0
	v_mov_b32_e32 v2, s1
	v_add_co_u32_e32 v4, vcc, s0, v1
	s_cmp_lg_u32 s6, s7
	v_addc_co_u32_e32 v5, vcc, 0, v2, vcc
	s_cbranch_scc0 .LBB13_2
; %bb.1:
	global_load_dwordx2 v[6:7], v[4:5], off
	global_load_dwordx2 v[2:3], v[4:5], off offset:2048
	s_add_u32 s0, s8, s4
	s_addc_u32 s1, s9, s5
	s_waitcnt vmcnt(1)
	global_store_dwordx2 v1, v[6:7], s[0:1]
	s_mov_b64 s[0:1], -1
	s_cbranch_execz .LBB13_3
	s_branch .LBB13_10
.LBB13_2:
	s_mov_b64 s[0:1], 0
                                        ; implicit-def: $vgpr2_vgpr3
.LBB13_3:
	s_sub_i32 s2, s2, s10
	v_cmp_gt_u32_e32 vcc, s2, v0
                                        ; implicit-def: $vgpr6_vgpr7
	s_and_saveexec_b64 s[0:1], vcc
	s_cbranch_execz .LBB13_5
; %bb.4:
	global_load_dwordx2 v[6:7], v[4:5], off
.LBB13_5:
	s_or_b64 exec, exec, s[0:1]
	v_or_b32_e32 v0, 0x100, v0
	v_cmp_gt_u32_e64 s[0:1], s2, v0
                                        ; implicit-def: $vgpr2_vgpr3
	s_and_saveexec_b64 s[2:3], s[0:1]
	s_cbranch_execz .LBB13_7
; %bb.6:
	global_load_dwordx2 v[2:3], v[4:5], off offset:2048
.LBB13_7:
	s_or_b64 exec, exec, s[2:3]
	s_and_saveexec_b64 s[2:3], vcc
	s_xor_b64 s[2:3], exec, s[2:3]
	s_cbranch_execz .LBB13_9
; %bb.8:
	s_add_u32 s6, s8, s4
	s_addc_u32 s7, s9, s5
	s_waitcnt vmcnt(0)
	global_store_dwordx2 v1, v[6:7], s[6:7]
.LBB13_9:
	s_or_b64 exec, exec, s[2:3]
.LBB13_10:
	s_and_saveexec_b64 s[2:3], s[0:1]
	s_cbranch_execnz .LBB13_12
; %bb.11:
	s_endpgm
.LBB13_12:
	s_add_u32 s0, s8, s4
	s_addc_u32 s1, s9, s5
	s_waitcnt vmcnt(0)
	global_store_dwordx2 v1, v[2:3], s[0:1] offset:2048
	s_endpgm
	.section	.rodata,"a",@progbits
	.p2align	6, 0x0
	.amdhsa_kernel _ZN7rocprim17ROCPRIM_304000_NS6detail16transform_kernelINS1_24wrapped_transform_configINS0_14default_configEN2at4cuda3cub6detail10OpaqueTypeILi8EEEEESA_PKSA_PSA_NS0_8identityISA_EEEEvT1_mT2_T3_
		.amdhsa_group_segment_fixed_size 0
		.amdhsa_private_segment_fixed_size 0
		.amdhsa_kernarg_size 288
		.amdhsa_user_sgpr_count 6
		.amdhsa_user_sgpr_private_segment_buffer 1
		.amdhsa_user_sgpr_dispatch_ptr 0
		.amdhsa_user_sgpr_queue_ptr 0
		.amdhsa_user_sgpr_kernarg_segment_ptr 1
		.amdhsa_user_sgpr_dispatch_id 0
		.amdhsa_user_sgpr_flat_scratch_init 0
		.amdhsa_user_sgpr_kernarg_preload_length 0
		.amdhsa_user_sgpr_kernarg_preload_offset 0
		.amdhsa_user_sgpr_private_segment_size 0
		.amdhsa_uses_dynamic_stack 0
		.amdhsa_system_sgpr_private_segment_wavefront_offset 0
		.amdhsa_system_sgpr_workgroup_id_x 1
		.amdhsa_system_sgpr_workgroup_id_y 0
		.amdhsa_system_sgpr_workgroup_id_z 0
		.amdhsa_system_sgpr_workgroup_info 0
		.amdhsa_system_vgpr_workitem_id 0
		.amdhsa_next_free_vgpr 8
		.amdhsa_next_free_sgpr 12
		.amdhsa_accum_offset 8
		.amdhsa_reserve_vcc 1
		.amdhsa_reserve_flat_scratch 0
		.amdhsa_float_round_mode_32 0
		.amdhsa_float_round_mode_16_64 0
		.amdhsa_float_denorm_mode_32 3
		.amdhsa_float_denorm_mode_16_64 3
		.amdhsa_dx10_clamp 1
		.amdhsa_ieee_mode 1
		.amdhsa_fp16_overflow 0
		.amdhsa_tg_split 0
		.amdhsa_exception_fp_ieee_invalid_op 0
		.amdhsa_exception_fp_denorm_src 0
		.amdhsa_exception_fp_ieee_div_zero 0
		.amdhsa_exception_fp_ieee_overflow 0
		.amdhsa_exception_fp_ieee_underflow 0
		.amdhsa_exception_fp_ieee_inexact 0
		.amdhsa_exception_int_div_zero 0
	.end_amdhsa_kernel
	.section	.text._ZN7rocprim17ROCPRIM_304000_NS6detail16transform_kernelINS1_24wrapped_transform_configINS0_14default_configEN2at4cuda3cub6detail10OpaqueTypeILi8EEEEESA_PKSA_PSA_NS0_8identityISA_EEEEvT1_mT2_T3_,"axG",@progbits,_ZN7rocprim17ROCPRIM_304000_NS6detail16transform_kernelINS1_24wrapped_transform_configINS0_14default_configEN2at4cuda3cub6detail10OpaqueTypeILi8EEEEESA_PKSA_PSA_NS0_8identityISA_EEEEvT1_mT2_T3_,comdat
.Lfunc_end13:
	.size	_ZN7rocprim17ROCPRIM_304000_NS6detail16transform_kernelINS1_24wrapped_transform_configINS0_14default_configEN2at4cuda3cub6detail10OpaqueTypeILi8EEEEESA_PKSA_PSA_NS0_8identityISA_EEEEvT1_mT2_T3_, .Lfunc_end13-_ZN7rocprim17ROCPRIM_304000_NS6detail16transform_kernelINS1_24wrapped_transform_configINS0_14default_configEN2at4cuda3cub6detail10OpaqueTypeILi8EEEEESA_PKSA_PSA_NS0_8identityISA_EEEEvT1_mT2_T3_
                                        ; -- End function
	.section	.AMDGPU.csdata,"",@progbits
; Kernel info:
; codeLenInByte = 264
; NumSgprs: 16
; NumVgprs: 8
; NumAgprs: 0
; TotalNumVgprs: 8
; ScratchSize: 0
; MemoryBound: 0
; FloatMode: 240
; IeeeMode: 1
; LDSByteSize: 0 bytes/workgroup (compile time only)
; SGPRBlocks: 1
; VGPRBlocks: 0
; NumSGPRsForWavesPerEU: 16
; NumVGPRsForWavesPerEU: 8
; AccumOffset: 8
; Occupancy: 8
; WaveLimiterHint : 1
; COMPUTE_PGM_RSRC2:SCRATCH_EN: 0
; COMPUTE_PGM_RSRC2:USER_SGPR: 6
; COMPUTE_PGM_RSRC2:TRAP_HANDLER: 0
; COMPUTE_PGM_RSRC2:TGID_X_EN: 1
; COMPUTE_PGM_RSRC2:TGID_Y_EN: 0
; COMPUTE_PGM_RSRC2:TGID_Z_EN: 0
; COMPUTE_PGM_RSRC2:TIDIG_COMP_CNT: 0
; COMPUTE_PGM_RSRC3_GFX90A:ACCUM_OFFSET: 1
; COMPUTE_PGM_RSRC3_GFX90A:TG_SPLIT: 0
	.section	.text._ZN7rocprim17ROCPRIM_304000_NS6detail25onesweep_iteration_kernelINS1_34wrapped_radix_sort_onesweep_configINS0_14default_configEtN2at4cuda3cub6detail10OpaqueTypeILi8EEEEELb1EPKtPtPKSA_PSA_mNS0_19identity_decomposerEEEvT1_T2_T3_T4_jPT5_SO_PNS1_23onesweep_lookback_stateET6_jjj,"axG",@progbits,_ZN7rocprim17ROCPRIM_304000_NS6detail25onesweep_iteration_kernelINS1_34wrapped_radix_sort_onesweep_configINS0_14default_configEtN2at4cuda3cub6detail10OpaqueTypeILi8EEEEELb1EPKtPtPKSA_PSA_mNS0_19identity_decomposerEEEvT1_T2_T3_T4_jPT5_SO_PNS1_23onesweep_lookback_stateET6_jjj,comdat
	.protected	_ZN7rocprim17ROCPRIM_304000_NS6detail25onesweep_iteration_kernelINS1_34wrapped_radix_sort_onesweep_configINS0_14default_configEtN2at4cuda3cub6detail10OpaqueTypeILi8EEEEELb1EPKtPtPKSA_PSA_mNS0_19identity_decomposerEEEvT1_T2_T3_T4_jPT5_SO_PNS1_23onesweep_lookback_stateET6_jjj ; -- Begin function _ZN7rocprim17ROCPRIM_304000_NS6detail25onesweep_iteration_kernelINS1_34wrapped_radix_sort_onesweep_configINS0_14default_configEtN2at4cuda3cub6detail10OpaqueTypeILi8EEEEELb1EPKtPtPKSA_PSA_mNS0_19identity_decomposerEEEvT1_T2_T3_T4_jPT5_SO_PNS1_23onesweep_lookback_stateET6_jjj
	.globl	_ZN7rocprim17ROCPRIM_304000_NS6detail25onesweep_iteration_kernelINS1_34wrapped_radix_sort_onesweep_configINS0_14default_configEtN2at4cuda3cub6detail10OpaqueTypeILi8EEEEELb1EPKtPtPKSA_PSA_mNS0_19identity_decomposerEEEvT1_T2_T3_T4_jPT5_SO_PNS1_23onesweep_lookback_stateET6_jjj
	.p2align	8
	.type	_ZN7rocprim17ROCPRIM_304000_NS6detail25onesweep_iteration_kernelINS1_34wrapped_radix_sort_onesweep_configINS0_14default_configEtN2at4cuda3cub6detail10OpaqueTypeILi8EEEEELb1EPKtPtPKSA_PSA_mNS0_19identity_decomposerEEEvT1_T2_T3_T4_jPT5_SO_PNS1_23onesweep_lookback_stateET6_jjj,@function
_ZN7rocprim17ROCPRIM_304000_NS6detail25onesweep_iteration_kernelINS1_34wrapped_radix_sort_onesweep_configINS0_14default_configEtN2at4cuda3cub6detail10OpaqueTypeILi8EEEEELb1EPKtPtPKSA_PSA_mNS0_19identity_decomposerEEEvT1_T2_T3_T4_jPT5_SO_PNS1_23onesweep_lookback_stateET6_jjj: ; @_ZN7rocprim17ROCPRIM_304000_NS6detail25onesweep_iteration_kernelINS1_34wrapped_radix_sort_onesweep_configINS0_14default_configEtN2at4cuda3cub6detail10OpaqueTypeILi8EEEEELb1EPKtPtPKSA_PSA_mNS0_19identity_decomposerEEEvT1_T2_T3_T4_jPT5_SO_PNS1_23onesweep_lookback_stateET6_jjj
; %bb.0:
	s_load_dwordx4 s[48:51], s[4:5], 0x44
	s_load_dwordx8 s[36:43], s[4:5], 0x0
	s_load_dwordx4 s[44:47], s[4:5], 0x28
	s_load_dwordx2 s[34:35], s[4:5], 0x38
	s_mul_i32 s30, s6, 0x1800
	s_waitcnt lgkmcnt(0)
	s_cmp_ge_u32 s6, s50
	v_mbcnt_lo_u32_b32 v1, -1, 0
	s_cbranch_scc0 .LBB14_86
; %bb.1:
	s_load_dword s2, s[4:5], 0x20
	s_mulk_i32 s50, 0xe800
	s_mov_b32 s31, 0
	v_and_b32_e32 v6, 0x3ff, v0
	s_lshl_b64 s[0:1], s[30:31], 1
	s_waitcnt lgkmcnt(0)
	s_add_i32 s50, s50, s2
	s_add_u32 s0, s36, s0
	v_mbcnt_hi_u32_b32 v12, -1, v1
	v_and_b32_e32 v2, 0x3c0, v6
	s_addc_u32 s1, s37, s1
	v_mul_u32_u24_e32 v7, 6, v2
	v_lshlrev_b32_e32 v2, 1, v12
	v_mov_b32_e32 v3, s1
	v_add_co_u32_e32 v2, vcc, s0, v2
	v_addc_co_u32_e32 v3, vcc, 0, v3, vcc
	v_lshlrev_b32_e32 v4, 1, v7
	v_add_co_u32_e32 v8, vcc, v2, v4
	s_mov_b32 s2, s31
	v_addc_co_u32_e32 v9, vcc, 0, v3, vcc
	v_or_b32_e32 v10, v12, v7
	s_mov_b32 s0, s31
	s_mov_b32 s1, s31
	v_pk_mov_b32 v[4:5], s[2:3], s[2:3] op_sel:[0,1]
	v_cmp_gt_u32_e32 vcc, s50, v10
	v_pk_mov_b32 v[2:3], s[0:1], s[0:1] op_sel:[0,1]
	s_and_saveexec_b64 s[0:1], vcc
	s_cbranch_execz .LBB14_3
; %bb.2:
	global_load_ushort v2, v[8:9], off
	v_mov_b32_e32 v3, 0
	v_mov_b32_e32 v4, v3
	s_waitcnt vmcnt(0)
	v_and_b32_e32 v2, 0xffff, v2
.LBB14_3:
	s_or_b64 exec, exec, s[0:1]
	v_add_u32_e32 v5, 64, v10
	v_cmp_gt_u32_e64 s[0:1], s50, v5
	s_and_saveexec_b64 s[2:3], s[0:1]
	s_cbranch_execz .LBB14_5
; %bb.4:
	global_load_ushort v5, v[8:9], off offset:128
	s_mov_b32 s7, 0x5040100
	s_waitcnt vmcnt(0)
	v_perm_b32 v2, v5, v2, s7
.LBB14_5:
	s_or_b64 exec, exec, s[2:3]
	v_add_u32_e32 v5, 0x80, v10
	v_cmp_gt_u32_e64 s[2:3], s50, v5
	s_and_saveexec_b64 s[8:9], s[2:3]
	s_cbranch_execz .LBB14_7
; %bb.6:
	global_load_ushort v5, v[8:9], off offset:256
	s_mov_b32 s7, 0xffff
	s_waitcnt vmcnt(0)
	v_bfi_b32 v3, s7, v5, v3
.LBB14_7:
	s_or_b64 exec, exec, s[8:9]
	v_add_u32_e32 v5, 0xc0, v10
	v_cmp_gt_u32_e64 s[26:27], s50, v5
	s_and_saveexec_b64 s[8:9], s[26:27]
	s_cbranch_execz .LBB14_9
; %bb.8:
	global_load_ushort v5, v[8:9], off offset:384
	s_mov_b32 s7, 0x5040100
	s_waitcnt vmcnt(0)
	v_perm_b32 v3, v5, v3, s7
.LBB14_9:
	s_or_b64 exec, exec, s[8:9]
	v_add_u32_e32 v5, 0x100, v10
	v_cmp_gt_u32_e64 s[8:9], s50, v5
	s_and_saveexec_b64 s[10:11], s[8:9]
	s_cbranch_execz .LBB14_11
; %bb.10:
	global_load_ushort v5, v[8:9], off offset:512
	s_mov_b32 s7, 0xffff
	s_waitcnt vmcnt(0)
	v_bfi_b32 v4, s7, v5, v4
.LBB14_11:
	s_or_b64 exec, exec, s[10:11]
	v_add_u32_e32 v5, 0x140, v10
	v_cmp_gt_u32_e64 s[10:11], s50, v5
	s_and_saveexec_b64 s[12:13], s[10:11]
	s_cbranch_execz .LBB14_13
; %bb.12:
	global_load_ushort v5, v[8:9], off offset:640
	s_mov_b32 s7, 0x5040100
	s_waitcnt vmcnt(0)
	v_perm_b32 v4, v5, v4, s7
.LBB14_13:
	s_or_b64 exec, exec, s[12:13]
	s_load_dword s12, s[4:5], 0x5c
	s_load_dword s7, s[4:5], 0x50
	s_add_u32 s13, s4, 0x50
	s_addc_u32 s14, s5, 0
	v_mov_b32_e32 v8, 0
	s_waitcnt lgkmcnt(0)
	s_lshr_b32 s15, s12, 16
	s_cmp_lt_u32 s6, s7
	s_cselect_b32 s12, 12, 18
	s_add_u32 s12, s13, s12
	s_addc_u32 s13, s14, 0
	global_load_ushort v5, v8, s[12:13]
	v_xor_b32_e32 v13, -1, v2
	v_mul_u32_u24_e32 v11, 5, v6
	s_lshl_b32 s12, -1, s49
	v_lshlrev_b32_e32 v14, 2, v11
	v_lshrrev_b32_sdwa v11, s48, v13 dst_sel:DWORD dst_unused:UNUSED_PAD src0_sel:DWORD src1_sel:WORD_0
	s_not_b32 s33, s12
	v_and_b32_e32 v11, s33, v11
	v_and_b32_e32 v16, 1, v11
	v_bfe_u32 v9, v0, 10, 10
	v_bfe_u32 v10, v0, 20, 10
	v_add_co_u32_e64 v17, s[12:13], -1, v16
	v_mad_u32_u24 v10, v10, s15, v9
	v_lshlrev_b32_e32 v9, 30, v11
	v_addc_co_u32_e64 v18, s[12:13], 0, -1, s[12:13]
	v_cmp_ne_u32_e64 s[12:13], 0, v16
	v_cmp_gt_i64_e64 s[14:15], 0, v[8:9]
	v_not_b32_e32 v16, v9
	v_lshlrev_b32_e32 v9, 29, v11
	v_xor_b32_e32 v18, s13, v18
	v_xor_b32_e32 v17, s12, v17
	v_ashrrev_i32_e32 v16, 31, v16
	v_cmp_gt_i64_e64 s[12:13], 0, v[8:9]
	v_not_b32_e32 v19, v9
	v_lshlrev_b32_e32 v9, 28, v11
	v_and_b32_e32 v18, exec_hi, v18
	v_and_b32_e32 v17, exec_lo, v17
	v_xor_b32_e32 v20, s15, v16
	v_xor_b32_e32 v16, s14, v16
	v_ashrrev_i32_e32 v19, 31, v19
	v_cmp_gt_i64_e64 s[14:15], 0, v[8:9]
	v_not_b32_e32 v21, v9
	v_lshlrev_b32_e32 v9, 27, v11
	v_and_b32_e32 v18, v18, v20
	v_and_b32_e32 v16, v17, v16
	v_xor_b32_e32 v17, s13, v19
	v_xor_b32_e32 v19, s12, v19
	v_ashrrev_i32_e32 v20, 31, v21
	v_cmp_gt_i64_e64 s[12:13], 0, v[8:9]
	v_not_b32_e32 v21, v9
	v_lshlrev_b32_e32 v9, 26, v11
	v_and_b32_e32 v17, v18, v17
	v_and_b32_e32 v16, v16, v19
	;; [unrolled: 8-line block ×3, first 2 shown]
	v_xor_b32_e32 v18, s13, v20
	v_xor_b32_e32 v19, s12, v20
	v_ashrrev_i32_e32 v20, 31, v21
	v_not_b32_e32 v21, v9
	v_mul_u32_u24_e32 v15, 17, v11
	v_cmp_gt_i64_e64 s[12:13], 0, v[8:9]
	v_lshlrev_b32_e32 v9, 24, v11
	v_and_b32_e32 v11, v17, v18
	v_and_b32_e32 v16, v16, v19
	v_xor_b32_e32 v17, s15, v20
	v_ashrrev_i32_e32 v19, 31, v21
	v_xor_b32_e32 v18, s14, v20
	v_cmp_gt_i64_e64 s[14:15], 0, v[8:9]
	v_not_b32_e32 v9, v9
	v_and_b32_e32 v11, v11, v17
	v_xor_b32_e32 v17, s13, v19
	v_and_b32_e32 v16, v16, v18
	v_xor_b32_e32 v18, s12, v19
	v_and_b32_e32 v17, v11, v17
	v_ashrrev_i32_e32 v9, 31, v9
	v_and_b32_e32 v16, v16, v18
	ds_write2_b32 v14, v8, v8 offset0:16 offset1:17
	ds_write2_b32 v14, v8, v8 offset0:18 offset1:19
	ds_write_b32 v14, v8 offset:80
	s_waitcnt lgkmcnt(0)
	s_barrier
	s_waitcnt lgkmcnt(0)
	; wave barrier
	s_waitcnt vmcnt(0)
	v_mad_u64_u32 v[10:11], s[12:13], v10, v5, v[6:7]
	v_lshrrev_b32_e32 v5, 6, v10
	v_xor_b32_e32 v10, s15, v9
	v_xor_b32_e32 v9, s14, v9
	v_and_b32_e32 v11, v17, v10
	v_and_b32_e32 v10, v16, v9
	v_mbcnt_lo_u32_b32 v9, v10, 0
	v_add_lshl_u32 v18, v5, v15, 2
	v_mbcnt_hi_u32_b32 v15, v11, v9
	v_cmp_eq_u32_e64 s[12:13], 0, v15
	v_cmp_ne_u64_e64 s[14:15], 0, v[10:11]
	s_and_b64 s[14:15], s[14:15], s[12:13]
	s_and_saveexec_b64 s[12:13], s[14:15]
	s_cbranch_execz .LBB14_15
; %bb.14:
	v_bcnt_u32_b32 v9, v10, 0
	v_bcnt_u32_b32 v9, v11, v9
	ds_write_b32 v18, v9 offset:64
.LBB14_15:
	s_or_b64 exec, exec, s[12:13]
	v_mov_b32_e32 v9, -1
	v_xor_b32_sdwa v16, v2, v9 dst_sel:DWORD dst_unused:UNUSED_PAD src0_sel:WORD_1 src1_sel:DWORD
	v_lshrrev_b32_sdwa v2, s48, v16 dst_sel:DWORD dst_unused:UNUSED_PAD src0_sel:DWORD src1_sel:WORD_0
	v_and_b32_e32 v2, s33, v2
	v_mul_u32_u24_e32 v9, 17, v2
	v_add_lshl_u32 v19, v5, v9, 2
	v_and_b32_e32 v9, 1, v2
	v_add_co_u32_e64 v10, s[12:13], -1, v9
	v_addc_co_u32_e64 v11, s[12:13], 0, -1, s[12:13]
	v_cmp_ne_u32_e64 s[12:13], 0, v9
	v_xor_b32_e32 v9, s13, v11
	v_and_b32_e32 v11, exec_hi, v9
	v_lshlrev_b32_e32 v9, 30, v2
	v_xor_b32_e32 v10, s12, v10
	v_cmp_gt_i64_e64 s[12:13], 0, v[8:9]
	v_not_b32_e32 v9, v9
	v_ashrrev_i32_e32 v9, 31, v9
	v_and_b32_e32 v10, exec_lo, v10
	v_xor_b32_e32 v20, s13, v9
	v_xor_b32_e32 v9, s12, v9
	v_and_b32_e32 v10, v10, v9
	v_lshlrev_b32_e32 v9, 29, v2
	v_cmp_gt_i64_e64 s[12:13], 0, v[8:9]
	v_not_b32_e32 v9, v9
	v_ashrrev_i32_e32 v9, 31, v9
	v_and_b32_e32 v11, v11, v20
	v_xor_b32_e32 v20, s13, v9
	v_xor_b32_e32 v9, s12, v9
	v_and_b32_e32 v10, v10, v9
	v_lshlrev_b32_e32 v9, 28, v2
	v_cmp_gt_i64_e64 s[12:13], 0, v[8:9]
	v_not_b32_e32 v9, v9
	v_ashrrev_i32_e32 v9, 31, v9
	v_and_b32_e32 v11, v11, v20
	;; [unrolled: 8-line block ×5, first 2 shown]
	v_xor_b32_e32 v20, s13, v9
	v_xor_b32_e32 v9, s12, v9
	v_and_b32_e32 v10, v10, v9
	v_lshlrev_b32_e32 v9, 24, v2
	v_not_b32_e32 v2, v9
	v_cmp_gt_i64_e64 s[12:13], 0, v[8:9]
	v_ashrrev_i32_e32 v2, 31, v2
	v_and_b32_e32 v11, v11, v20
	v_xor_b32_e32 v8, s13, v2
	v_xor_b32_e32 v2, s12, v2
	; wave barrier
	ds_read_b32 v17, v19 offset:64
	v_and_b32_e32 v9, v11, v8
	v_and_b32_e32 v8, v10, v2
	v_mbcnt_lo_u32_b32 v2, v8, 0
	v_mbcnt_hi_u32_b32 v21, v9, v2
	v_cmp_eq_u32_e64 s[12:13], 0, v21
	v_cmp_ne_u64_e64 s[14:15], 0, v[8:9]
	s_and_b64 s[14:15], s[14:15], s[12:13]
	; wave barrier
	s_and_saveexec_b64 s[12:13], s[14:15]
	s_cbranch_execz .LBB14_17
; %bb.16:
	v_bcnt_u32_b32 v2, v8, 0
	v_bcnt_u32_b32 v2, v9, v2
	s_waitcnt lgkmcnt(0)
	v_add_u32_e32 v2, v17, v2
	ds_write_b32 v19, v2 offset:64
.LBB14_17:
	s_or_b64 exec, exec, s[12:13]
	v_xor_b32_e32 v22, -1, v3
	v_lshrrev_b32_sdwa v2, s48, v22 dst_sel:DWORD dst_unused:UNUSED_PAD src0_sel:DWORD src1_sel:WORD_0
	v_and_b32_e32 v2, s33, v2
	v_and_b32_e32 v9, 1, v2
	v_add_co_u32_e64 v10, s[12:13], -1, v9
	v_addc_co_u32_e64 v11, s[12:13], 0, -1, s[12:13]
	v_cmp_ne_u32_e64 s[12:13], 0, v9
	v_mul_u32_u24_e32 v8, 17, v2
	v_xor_b32_e32 v9, s13, v11
	v_add_lshl_u32 v20, v5, v8, 2
	v_mov_b32_e32 v8, 0
	v_and_b32_e32 v11, exec_hi, v9
	v_lshlrev_b32_e32 v9, 30, v2
	v_xor_b32_e32 v10, s12, v10
	v_cmp_gt_i64_e64 s[12:13], 0, v[8:9]
	v_not_b32_e32 v9, v9
	v_ashrrev_i32_e32 v9, 31, v9
	v_and_b32_e32 v10, exec_lo, v10
	v_xor_b32_e32 v24, s13, v9
	v_xor_b32_e32 v9, s12, v9
	v_and_b32_e32 v10, v10, v9
	v_lshlrev_b32_e32 v9, 29, v2
	v_cmp_gt_i64_e64 s[12:13], 0, v[8:9]
	v_not_b32_e32 v9, v9
	v_ashrrev_i32_e32 v9, 31, v9
	v_and_b32_e32 v11, v11, v24
	v_xor_b32_e32 v24, s13, v9
	v_xor_b32_e32 v9, s12, v9
	v_and_b32_e32 v10, v10, v9
	v_lshlrev_b32_e32 v9, 28, v2
	v_cmp_gt_i64_e64 s[12:13], 0, v[8:9]
	v_not_b32_e32 v9, v9
	v_ashrrev_i32_e32 v9, 31, v9
	v_and_b32_e32 v11, v11, v24
	;; [unrolled: 8-line block ×5, first 2 shown]
	v_xor_b32_e32 v24, s13, v9
	v_xor_b32_e32 v9, s12, v9
	v_and_b32_e32 v10, v10, v9
	v_lshlrev_b32_e32 v9, 24, v2
	v_not_b32_e32 v2, v9
	v_cmp_gt_i64_e64 s[12:13], 0, v[8:9]
	v_ashrrev_i32_e32 v2, 31, v2
	v_xor_b32_e32 v9, s13, v2
	v_xor_b32_e32 v2, s12, v2
	; wave barrier
	ds_read_b32 v23, v20 offset:64
	v_and_b32_e32 v11, v11, v24
	v_and_b32_e32 v10, v10, v2
	;; [unrolled: 1-line block ×3, first 2 shown]
	v_mbcnt_lo_u32_b32 v2, v10, 0
	v_mbcnt_hi_u32_b32 v24, v11, v2
	v_cmp_eq_u32_e64 s[12:13], 0, v24
	v_cmp_ne_u64_e64 s[14:15], 0, v[10:11]
	s_and_b64 s[14:15], s[14:15], s[12:13]
	; wave barrier
	s_and_saveexec_b64 s[12:13], s[14:15]
	s_cbranch_execz .LBB14_19
; %bb.18:
	v_bcnt_u32_b32 v2, v10, 0
	v_bcnt_u32_b32 v2, v11, v2
	s_waitcnt lgkmcnt(0)
	v_add_u32_e32 v2, v23, v2
	ds_write_b32 v20, v2 offset:64
.LBB14_19:
	s_or_b64 exec, exec, s[12:13]
	v_mov_b32_e32 v2, -1
	v_xor_b32_sdwa v10, v3, v2 dst_sel:DWORD dst_unused:UNUSED_PAD src0_sel:WORD_1 src1_sel:DWORD
	v_lshrrev_b32_sdwa v2, s48, v10 dst_sel:DWORD dst_unused:UNUSED_PAD src0_sel:DWORD src1_sel:WORD_0
	v_and_b32_e32 v2, s33, v2
	v_mul_u32_u24_e32 v3, 17, v2
	v_add_lshl_u32 v25, v5, v3, 2
	v_and_b32_e32 v3, 1, v2
	v_add_co_u32_e64 v9, s[12:13], -1, v3
	v_addc_co_u32_e64 v26, s[12:13], 0, -1, s[12:13]
	v_cmp_ne_u32_e64 s[12:13], 0, v3
	v_xor_b32_e32 v9, s12, v9
	v_xor_b32_e32 v3, s13, v26
	v_and_b32_e32 v26, exec_lo, v9
	v_lshlrev_b32_e32 v9, 30, v2
	v_cmp_gt_i64_e64 s[12:13], 0, v[8:9]
	v_not_b32_e32 v9, v9
	v_ashrrev_i32_e32 v9, 31, v9
	v_xor_b32_e32 v27, s13, v9
	v_xor_b32_e32 v9, s12, v9
	v_and_b32_e32 v26, v26, v9
	v_lshlrev_b32_e32 v9, 29, v2
	v_cmp_gt_i64_e64 s[12:13], 0, v[8:9]
	v_not_b32_e32 v9, v9
	v_and_b32_e32 v3, exec_hi, v3
	v_ashrrev_i32_e32 v9, 31, v9
	v_and_b32_e32 v3, v3, v27
	v_xor_b32_e32 v27, s13, v9
	v_xor_b32_e32 v9, s12, v9
	v_and_b32_e32 v26, v26, v9
	v_lshlrev_b32_e32 v9, 28, v2
	v_cmp_gt_i64_e64 s[12:13], 0, v[8:9]
	v_not_b32_e32 v9, v9
	v_ashrrev_i32_e32 v9, 31, v9
	v_and_b32_e32 v3, v3, v27
	v_xor_b32_e32 v27, s13, v9
	v_xor_b32_e32 v9, s12, v9
	v_and_b32_e32 v26, v26, v9
	v_lshlrev_b32_e32 v9, 27, v2
	v_cmp_gt_i64_e64 s[12:13], 0, v[8:9]
	v_not_b32_e32 v9, v9
	;; [unrolled: 8-line block ×4, first 2 shown]
	v_ashrrev_i32_e32 v9, 31, v9
	v_and_b32_e32 v3, v3, v27
	v_xor_b32_e32 v27, s13, v9
	v_xor_b32_e32 v9, s12, v9
	v_and_b32_e32 v26, v26, v9
	v_lshlrev_b32_e32 v9, 24, v2
	v_not_b32_e32 v2, v9
	v_cmp_gt_i64_e64 s[12:13], 0, v[8:9]
	v_ashrrev_i32_e32 v2, 31, v2
	v_xor_b32_e32 v8, s13, v2
	v_xor_b32_e32 v2, s12, v2
	; wave barrier
	ds_read_b32 v11, v25 offset:64
	v_and_b32_e32 v3, v3, v27
	v_and_b32_e32 v2, v26, v2
	;; [unrolled: 1-line block ×3, first 2 shown]
	v_mbcnt_lo_u32_b32 v8, v2, 0
	v_mbcnt_hi_u32_b32 v28, v3, v8
	v_cmp_eq_u32_e64 s[12:13], 0, v28
	v_cmp_ne_u64_e64 s[14:15], 0, v[2:3]
	s_and_b64 s[14:15], s[14:15], s[12:13]
	; wave barrier
	s_and_saveexec_b64 s[12:13], s[14:15]
	s_cbranch_execz .LBB14_21
; %bb.20:
	v_bcnt_u32_b32 v2, v2, 0
	v_bcnt_u32_b32 v2, v3, v2
	s_waitcnt lgkmcnt(0)
	v_add_u32_e32 v2, v11, v2
	ds_write_b32 v25, v2 offset:64
.LBB14_21:
	s_or_b64 exec, exec, s[12:13]
	v_xor_b32_e32 v29, -1, v4
	v_lshrrev_b32_sdwa v2, s48, v29 dst_sel:DWORD dst_unused:UNUSED_PAD src0_sel:DWORD src1_sel:WORD_0
	v_and_b32_e32 v8, s33, v2
	v_and_b32_e32 v3, 1, v8
	v_add_co_u32_e64 v9, s[12:13], -1, v3
	v_addc_co_u32_e64 v27, s[12:13], 0, -1, s[12:13]
	v_cmp_ne_u32_e64 s[12:13], 0, v3
	v_mul_u32_u24_e32 v2, 17, v8
	v_xor_b32_e32 v3, s13, v27
	v_add_lshl_u32 v26, v5, v2, 2
	v_mov_b32_e32 v2, 0
	v_and_b32_e32 v27, exec_hi, v3
	v_lshlrev_b32_e32 v3, 30, v8
	v_xor_b32_e32 v9, s12, v9
	v_cmp_gt_i64_e64 s[12:13], 0, v[2:3]
	v_not_b32_e32 v3, v3
	v_ashrrev_i32_e32 v3, 31, v3
	v_and_b32_e32 v9, exec_lo, v9
	v_xor_b32_e32 v31, s13, v3
	v_xor_b32_e32 v3, s12, v3
	v_and_b32_e32 v9, v9, v3
	v_lshlrev_b32_e32 v3, 29, v8
	v_cmp_gt_i64_e64 s[12:13], 0, v[2:3]
	v_not_b32_e32 v3, v3
	v_ashrrev_i32_e32 v3, 31, v3
	v_and_b32_e32 v27, v27, v31
	v_xor_b32_e32 v31, s13, v3
	v_xor_b32_e32 v3, s12, v3
	v_and_b32_e32 v9, v9, v3
	v_lshlrev_b32_e32 v3, 28, v8
	v_cmp_gt_i64_e64 s[12:13], 0, v[2:3]
	v_not_b32_e32 v3, v3
	v_ashrrev_i32_e32 v3, 31, v3
	v_and_b32_e32 v27, v27, v31
	;; [unrolled: 8-line block ×5, first 2 shown]
	v_xor_b32_e32 v31, s13, v3
	v_xor_b32_e32 v3, s12, v3
	v_and_b32_e32 v27, v27, v31
	v_and_b32_e32 v31, v9, v3
	v_lshlrev_b32_e32 v3, 24, v8
	v_cmp_gt_i64_e64 s[12:13], 0, v[2:3]
	v_not_b32_e32 v3, v3
	v_ashrrev_i32_e32 v3, 31, v3
	v_xor_b32_e32 v8, s13, v3
	v_xor_b32_e32 v3, s12, v3
	; wave barrier
	ds_read_b32 v30, v26 offset:64
	v_and_b32_e32 v9, v27, v8
	v_and_b32_e32 v8, v31, v3
	v_mbcnt_lo_u32_b32 v3, v8, 0
	v_mbcnt_hi_u32_b32 v31, v9, v3
	v_cmp_eq_u32_e64 s[12:13], 0, v31
	v_cmp_ne_u64_e64 s[14:15], 0, v[8:9]
	s_and_b64 s[14:15], s[14:15], s[12:13]
	; wave barrier
	s_and_saveexec_b64 s[12:13], s[14:15]
	s_cbranch_execz .LBB14_23
; %bb.22:
	v_bcnt_u32_b32 v3, v8, 0
	v_bcnt_u32_b32 v3, v9, v3
	s_waitcnt lgkmcnt(0)
	v_add_u32_e32 v3, v30, v3
	ds_write_b32 v26, v3 offset:64
.LBB14_23:
	s_or_b64 exec, exec, s[12:13]
	v_mov_b32_e32 v3, -1
	v_xor_b32_sdwa v8, v4, v3 dst_sel:DWORD dst_unused:UNUSED_PAD src0_sel:WORD_1 src1_sel:DWORD
	v_lshrrev_b32_sdwa v3, s48, v8 dst_sel:DWORD dst_unused:UNUSED_PAD src0_sel:DWORD src1_sel:WORD_0
	v_and_b32_e32 v4, s33, v3
	v_mul_u32_u24_e32 v3, 17, v4
	v_add_lshl_u32 v32, v5, v3, 2
	v_and_b32_e32 v3, 1, v4
	v_add_co_u32_e64 v5, s[12:13], -1, v3
	v_addc_co_u32_e64 v33, s[12:13], 0, -1, s[12:13]
	v_cmp_ne_u32_e64 s[12:13], 0, v3
	v_xor_b32_e32 v3, s13, v33
	v_and_b32_e32 v33, exec_hi, v3
	v_lshlrev_b32_e32 v3, 30, v4
	v_xor_b32_e32 v5, s12, v5
	v_cmp_gt_i64_e64 s[12:13], 0, v[2:3]
	v_not_b32_e32 v3, v3
	v_ashrrev_i32_e32 v3, 31, v3
	v_and_b32_e32 v5, exec_lo, v5
	v_xor_b32_e32 v34, s13, v3
	v_xor_b32_e32 v3, s12, v3
	v_and_b32_e32 v5, v5, v3
	v_lshlrev_b32_e32 v3, 29, v4
	v_cmp_gt_i64_e64 s[12:13], 0, v[2:3]
	v_not_b32_e32 v3, v3
	v_ashrrev_i32_e32 v3, 31, v3
	v_and_b32_e32 v33, v33, v34
	v_xor_b32_e32 v34, s13, v3
	v_xor_b32_e32 v3, s12, v3
	v_and_b32_e32 v5, v5, v3
	v_lshlrev_b32_e32 v3, 28, v4
	v_cmp_gt_i64_e64 s[12:13], 0, v[2:3]
	v_not_b32_e32 v3, v3
	v_ashrrev_i32_e32 v3, 31, v3
	v_and_b32_e32 v33, v33, v34
	;; [unrolled: 8-line block ×5, first 2 shown]
	v_xor_b32_e32 v34, s13, v3
	v_xor_b32_e32 v3, s12, v3
	v_and_b32_e32 v5, v5, v3
	v_lshlrev_b32_e32 v3, 24, v4
	v_cmp_gt_i64_e64 s[12:13], 0, v[2:3]
	v_not_b32_e32 v2, v3
	v_ashrrev_i32_e32 v2, 31, v2
	v_xor_b32_e32 v3, s13, v2
	v_xor_b32_e32 v2, s12, v2
	; wave barrier
	ds_read_b32 v9, v32 offset:64
	v_and_b32_e32 v33, v33, v34
	v_and_b32_e32 v2, v5, v2
	v_and_b32_e32 v3, v33, v3
	v_mbcnt_lo_u32_b32 v4, v2, 0
	v_mbcnt_hi_u32_b32 v33, v3, v4
	v_cmp_eq_u32_e64 s[12:13], 0, v33
	v_cmp_ne_u64_e64 s[14:15], 0, v[2:3]
	v_add_u32_e32 v27, 64, v14
	s_and_b64 s[14:15], s[14:15], s[12:13]
	; wave barrier
	s_and_saveexec_b64 s[12:13], s[14:15]
	s_cbranch_execz .LBB14_25
; %bb.24:
	v_bcnt_u32_b32 v2, v2, 0
	v_bcnt_u32_b32 v2, v3, v2
	s_waitcnt lgkmcnt(0)
	v_add_u32_e32 v2, v9, v2
	ds_write_b32 v32, v2 offset:64
.LBB14_25:
	s_or_b64 exec, exec, s[12:13]
	; wave barrier
	s_waitcnt lgkmcnt(0)
	s_barrier
	ds_read2_b32 v[4:5], v14 offset0:16 offset1:17
	ds_read2_b32 v[2:3], v27 offset0:2 offset1:3
	ds_read_b32 v34, v27 offset:16
	v_cmp_lt_u32_e64 s[20:21], 31, v12
	s_waitcnt lgkmcnt(1)
	v_add3_u32 v35, v5, v4, v2
	s_waitcnt lgkmcnt(0)
	v_add3_u32 v34, v35, v3, v34
	v_and_b32_e32 v35, 15, v12
	v_cmp_eq_u32_e64 s[12:13], 0, v35
	v_mov_b32_dpp v36, v34 row_shr:1 row_mask:0xf bank_mask:0xf
	v_cndmask_b32_e64 v36, v36, 0, s[12:13]
	v_add_u32_e32 v34, v36, v34
	v_cmp_lt_u32_e64 s[14:15], 1, v35
	v_cmp_lt_u32_e64 s[16:17], 3, v35
	v_mov_b32_dpp v36, v34 row_shr:2 row_mask:0xf bank_mask:0xf
	v_cndmask_b32_e64 v36, 0, v36, s[14:15]
	v_add_u32_e32 v34, v34, v36
	v_cmp_lt_u32_e64 s[18:19], 7, v35
	s_nop 0
	v_mov_b32_dpp v36, v34 row_shr:4 row_mask:0xf bank_mask:0xf
	v_cndmask_b32_e64 v36, 0, v36, s[16:17]
	v_add_u32_e32 v34, v34, v36
	s_nop 1
	v_mov_b32_dpp v36, v34 row_shr:8 row_mask:0xf bank_mask:0xf
	v_cndmask_b32_e64 v35, 0, v36, s[18:19]
	v_add_u32_e32 v34, v34, v35
	v_bfe_i32 v36, v12, 4, 1
	s_nop 0
	v_mov_b32_dpp v35, v34 row_bcast:15 row_mask:0xf bank_mask:0xf
	v_and_b32_e32 v35, v36, v35
	v_add_u32_e32 v34, v34, v35
	v_and_b32_e32 v36, 63, v6
	s_nop 0
	v_mov_b32_dpp v35, v34 row_bcast:31 row_mask:0xf bank_mask:0xf
	v_cndmask_b32_e64 v35, 0, v35, s[20:21]
	v_add_u32_e32 v34, v34, v35
	v_lshrrev_b32_e32 v35, 6, v6
	v_cmp_eq_u32_e64 s[20:21], 63, v36
	s_and_saveexec_b64 s[22:23], s[20:21]
	s_cbranch_execz .LBB14_27
; %bb.26:
	v_lshlrev_b32_e32 v36, 2, v35
	ds_write_b32 v36, v34
.LBB14_27:
	s_or_b64 exec, exec, s[22:23]
	v_cmp_gt_u32_e64 s[20:21], 16, v6
	s_waitcnt lgkmcnt(0)
	s_barrier
	s_and_saveexec_b64 s[22:23], s[20:21]
	s_cbranch_execz .LBB14_29
; %bb.28:
	v_lshlrev_b32_e32 v36, 2, v6
	ds_read_b32 v37, v36
	s_waitcnt lgkmcnt(0)
	s_nop 0
	v_mov_b32_dpp v38, v37 row_shr:1 row_mask:0xf bank_mask:0xf
	v_cndmask_b32_e64 v38, v38, 0, s[12:13]
	v_add_u32_e32 v37, v38, v37
	s_nop 1
	v_mov_b32_dpp v38, v37 row_shr:2 row_mask:0xf bank_mask:0xf
	v_cndmask_b32_e64 v38, 0, v38, s[14:15]
	v_add_u32_e32 v37, v37, v38
	;; [unrolled: 4-line block ×4, first 2 shown]
	ds_write_b32 v36, v37
.LBB14_29:
	s_or_b64 exec, exec, s[22:23]
	v_cmp_lt_u32_e64 s[12:13], 63, v6
	v_mov_b32_e32 v36, 0
	s_waitcnt lgkmcnt(0)
	s_barrier
	s_and_saveexec_b64 s[14:15], s[12:13]
	s_cbranch_execz .LBB14_31
; %bb.30:
	v_lshl_add_u32 v35, v35, 2, -4
	ds_read_b32 v36, v35
.LBB14_31:
	s_or_b64 exec, exec, s[14:15]
	v_add_u32_e32 v35, -1, v12
	v_and_b32_e32 v37, 64, v12
	v_cmp_lt_i32_e64 s[12:13], v35, v37
	v_cndmask_b32_e64 v35, v35, v12, s[12:13]
	s_waitcnt lgkmcnt(0)
	v_add_u32_e32 v34, v36, v34
	v_lshlrev_b32_e32 v35, 2, v35
	ds_bpermute_b32 v34, v35, v34
	v_cmp_eq_u32_e64 s[12:13], 0, v12
	s_waitcnt lgkmcnt(0)
	v_cndmask_b32_e64 v34, v34, v36, s[12:13]
	v_cmp_ne_u32_e64 s[12:13], 0, v6
	v_cndmask_b32_e64 v34, 0, v34, s[12:13]
	v_add_u32_e32 v4, v34, v4
	v_add_u32_e32 v5, v4, v5
	;; [unrolled: 1-line block ×4, first 2 shown]
	ds_write2_b32 v14, v34, v4 offset0:16 offset1:17
	ds_write2_b32 v27, v5, v2 offset0:2 offset1:3
	ds_write_b32 v27, v3 offset:16
	s_waitcnt lgkmcnt(0)
	s_barrier
	ds_read_b32 v4, v18 offset:64
	ds_read_b32 v5, v19 offset:64
	;; [unrolled: 1-line block ×6, first 2 shown]
	s_movk_i32 s12, 0x100
	v_cmp_gt_u32_e64 s[12:13], s12, v6
	v_pk_mov_b32 v[2:3], 0, 0
                                        ; implicit-def: $vgpr20
	s_and_saveexec_b64 s[16:17], s[12:13]
	s_cbranch_execz .LBB14_35
; %bb.32:
	v_mul_u32_u24_e32 v2, 17, v6
	v_lshlrev_b32_e32 v20, 2, v2
	ds_read_b32 v2, v20 offset:64
	s_movk_i32 s14, 0xff
	v_cmp_ne_u32_e64 s[14:15], s14, v6
	v_mov_b32_e32 v3, 0x1800
	s_and_saveexec_b64 s[18:19], s[14:15]
	s_cbranch_execz .LBB14_34
; %bb.33:
	ds_read_b32 v3, v20 offset:132
.LBB14_34:
	s_or_b64 exec, exec, s[18:19]
	s_waitcnt lgkmcnt(0)
	v_sub_u32_e32 v20, v3, v2
	v_mov_b32_e32 v3, 0
.LBB14_35:
	s_or_b64 exec, exec, s[16:17]
	s_waitcnt lgkmcnt(5)
	v_add_u32_e32 v27, v4, v15
	s_waitcnt lgkmcnt(4)
	v_add3_u32 v26, v21, v17, v5
	v_lshlrev_b32_e32 v4, 1, v27
	s_waitcnt lgkmcnt(3)
	v_add3_u32 v25, v24, v23, v14
	s_waitcnt lgkmcnt(0)
	s_barrier
	ds_write_b16 v4, v13 offset:2048
	v_lshlrev_b32_e32 v4, 1, v26
	v_add3_u32 v24, v28, v11, v18
	ds_write_b16 v4, v16 offset:2048
	v_lshlrev_b32_e32 v4, 1, v25
	v_add3_u32 v23, v31, v30, v19
	;; [unrolled: 3-line block ×3, first 2 shown]
	ds_write_b16 v4, v10 offset:2048
	v_lshlrev_b32_e32 v4, 1, v23
	ds_write_b16 v4, v29 offset:2048
	v_lshlrev_b32_e32 v4, 1, v21
	ds_write_b16 v4, v8 offset:2048
	s_waitcnt lgkmcnt(0)
	s_barrier
	s_and_saveexec_b64 s[16:17], s[12:13]
	s_cbranch_execz .LBB14_45
; %bb.36:
	v_lshl_or_b32 v4, s6, 8, v6
	v_mov_b32_e32 v5, 0
	v_lshlrev_b64 v[8:9], 2, v[4:5]
	v_mov_b32_e32 v13, s35
	v_add_co_u32_e64 v8, s[14:15], s34, v8
	v_addc_co_u32_e64 v9, s[14:15], v13, v9, s[14:15]
	v_or_b32_e32 v4, 2.0, v20
	s_mov_b64 s[18:19], 0
	s_brev_b32 s24, 1
	s_mov_b32 s25, s6
	v_mov_b32_e32 v14, 0
	global_store_dword v[8:9], v4, off
                                        ; implicit-def: $sgpr14_sgpr15
	s_branch .LBB14_38
.LBB14_37:                              ;   in Loop: Header=BB14_38 Depth=1
	s_or_b64 exec, exec, s[20:21]
	v_and_b32_e32 v10, 0x3fffffff, v15
	v_add_u32_e32 v14, v10, v14
	v_cmp_eq_u32_e64 s[14:15], s24, v4
	s_and_b64 s[20:21], exec, s[14:15]
	s_or_b64 s[18:19], s[20:21], s[18:19]
	s_andn2_b64 exec, exec, s[18:19]
	s_cbranch_execz .LBB14_44
.LBB14_38:                              ; =>This Loop Header: Depth=1
                                        ;     Child Loop BB14_41 Depth 2
	s_or_b64 s[14:15], s[14:15], exec
	s_cmp_eq_u32 s25, 0
	s_cbranch_scc1 .LBB14_43
; %bb.39:                               ;   in Loop: Header=BB14_38 Depth=1
	s_add_i32 s25, s25, -1
	v_lshl_or_b32 v4, s25, 8, v6
	v_lshlrev_b64 v[10:11], 2, v[4:5]
	v_add_co_u32_e64 v10, s[14:15], s34, v10
	v_addc_co_u32_e64 v11, s[14:15], v13, v11, s[14:15]
	global_load_dword v15, v[10:11], off glc
	s_waitcnt vmcnt(0)
	v_and_b32_e32 v4, -2.0, v15
	v_cmp_eq_u32_e64 s[14:15], 0, v4
	s_and_saveexec_b64 s[20:21], s[14:15]
	s_cbranch_execz .LBB14_37
; %bb.40:                               ;   in Loop: Header=BB14_38 Depth=1
	s_mov_b64 s[22:23], 0
.LBB14_41:                              ;   Parent Loop BB14_38 Depth=1
                                        ; =>  This Inner Loop Header: Depth=2
	global_load_dword v15, v[10:11], off glc
	s_waitcnt vmcnt(0)
	v_and_b32_e32 v4, -2.0, v15
	v_cmp_ne_u32_e64 s[14:15], 0, v4
	s_or_b64 s[22:23], s[14:15], s[22:23]
	s_andn2_b64 exec, exec, s[22:23]
	s_cbranch_execnz .LBB14_41
; %bb.42:                               ;   in Loop: Header=BB14_38 Depth=1
	s_or_b64 exec, exec, s[22:23]
	s_branch .LBB14_37
.LBB14_43:                              ;   in Loop: Header=BB14_38 Depth=1
                                        ; implicit-def: $sgpr25
	s_and_b64 s[20:21], exec, s[14:15]
	s_or_b64 s[18:19], s[20:21], s[18:19]
	s_andn2_b64 exec, exec, s[18:19]
	s_cbranch_execnz .LBB14_38
.LBB14_44:
	s_or_b64 exec, exec, s[18:19]
	v_add_u32_e32 v4, v14, v20
	v_or_b32_e32 v4, 0x80000000, v4
	global_store_dword v[8:9], v4, off
	v_lshlrev_b32_e32 v8, 3, v6
	global_load_dwordx2 v[4:5], v8, s[44:45]
	v_sub_co_u32_e64 v9, s[14:15], v14, v2
	v_subb_co_u32_e64 v10, s[14:15], 0, v3, s[14:15]
	s_waitcnt vmcnt(0)
	v_add_co_u32_e64 v4, s[14:15], v9, v4
	v_addc_co_u32_e64 v5, s[14:15], v10, v5, s[14:15]
	ds_write_b64 v8, v[4:5]
.LBB14_45:
	s_or_b64 exec, exec, s[16:17]
	v_cmp_gt_u32_e64 s[14:15], s50, v6
	v_lshlrev_b32_e32 v32, 1, v6
	s_waitcnt lgkmcnt(0)
	s_barrier
	s_and_saveexec_b64 s[18:19], s[14:15]
	s_cbranch_execz .LBB14_47
; %bb.46:
	ds_read_u16 v8, v32 offset:2048
	v_mov_b32_e32 v9, s39
	s_waitcnt lgkmcnt(0)
	v_lshrrev_b32_sdwa v4, s48, v8 dst_sel:DWORD dst_unused:UNUSED_PAD src0_sel:DWORD src1_sel:WORD_0
	v_and_b32_e32 v4, s33, v4
	v_lshlrev_b32_e32 v4, 3, v4
	ds_read_b64 v[4:5], v4
	v_xor_b32_e32 v8, -1, v8
	s_waitcnt lgkmcnt(0)
	v_lshlrev_b64 v[4:5], 1, v[4:5]
	v_add_co_u32_e64 v4, s[16:17], s38, v4
	v_addc_co_u32_e64 v5, s[16:17], v9, v5, s[16:17]
	v_add_co_u32_e64 v4, s[16:17], v4, v32
	v_addc_co_u32_e64 v5, s[16:17], 0, v5, s[16:17]
	global_store_short v[4:5], v8, off
.LBB14_47:
	s_or_b64 exec, exec, s[18:19]
	v_or_b32_e32 v22, 0x400, v6
	v_cmp_gt_u32_e64 s[16:17], s50, v22
	s_and_saveexec_b64 s[20:21], s[16:17]
	s_cbranch_execz .LBB14_49
; %bb.48:
	ds_read_u16 v8, v32 offset:4096
	v_mov_b32_e32 v9, s39
	s_waitcnt lgkmcnt(0)
	v_lshrrev_b32_sdwa v4, s48, v8 dst_sel:DWORD dst_unused:UNUSED_PAD src0_sel:DWORD src1_sel:WORD_0
	v_and_b32_e32 v4, s33, v4
	v_lshlrev_b32_e32 v4, 3, v4
	ds_read_b64 v[4:5], v4
	v_xor_b32_e32 v8, -1, v8
	s_waitcnt lgkmcnt(0)
	v_lshlrev_b64 v[4:5], 1, v[4:5]
	v_add_co_u32_e64 v4, s[18:19], s38, v4
	v_addc_co_u32_e64 v5, s[18:19], v9, v5, s[18:19]
	v_add_co_u32_e64 v4, s[18:19], v4, v32
	v_addc_co_u32_e64 v5, s[18:19], 0, v5, s[18:19]
	global_store_short v[4:5], v8, off offset:2048
.LBB14_49:
	s_or_b64 exec, exec, s[20:21]
	v_or_b32_e32 v28, 0x800, v6
	v_cmp_gt_u32_e64 s[18:19], s50, v28
	s_and_saveexec_b64 s[22:23], s[18:19]
	s_cbranch_execz .LBB14_51
; %bb.50:
	ds_read_u16 v8, v32 offset:6144
	v_mov_b32_e32 v9, s39
	v_lshlrev_b32_e32 v10, 1, v28
	s_waitcnt lgkmcnt(0)
	v_lshrrev_b32_sdwa v4, s48, v8 dst_sel:DWORD dst_unused:UNUSED_PAD src0_sel:DWORD src1_sel:WORD_0
	v_and_b32_e32 v4, s33, v4
	v_lshlrev_b32_e32 v4, 3, v4
	ds_read_b64 v[4:5], v4
	v_xor_b32_e32 v8, -1, v8
	s_waitcnt lgkmcnt(0)
	v_lshlrev_b64 v[4:5], 1, v[4:5]
	v_add_co_u32_e64 v4, s[20:21], s38, v4
	v_addc_co_u32_e64 v5, s[20:21], v9, v5, s[20:21]
	v_add_co_u32_e64 v4, s[20:21], v4, v10
	v_addc_co_u32_e64 v5, s[20:21], 0, v5, s[20:21]
	global_store_short v[4:5], v8, off
.LBB14_51:
	s_or_b64 exec, exec, s[22:23]
	v_or_b32_e32 v29, 0xc00, v6
	v_cmp_gt_u32_e64 s[20:21], s50, v29
	s_and_saveexec_b64 s[24:25], s[20:21]
	s_cbranch_execz .LBB14_53
; %bb.52:
	ds_read_u16 v8, v32 offset:8192
	v_mov_b32_e32 v9, s39
	v_lshlrev_b32_e32 v10, 1, v29
	s_waitcnt lgkmcnt(0)
	v_lshrrev_b32_sdwa v4, s48, v8 dst_sel:DWORD dst_unused:UNUSED_PAD src0_sel:DWORD src1_sel:WORD_0
	v_and_b32_e32 v4, s33, v4
	v_lshlrev_b32_e32 v4, 3, v4
	ds_read_b64 v[4:5], v4
	v_xor_b32_e32 v8, -1, v8
	s_waitcnt lgkmcnt(0)
	v_lshlrev_b64 v[4:5], 1, v[4:5]
	v_add_co_u32_e64 v4, s[22:23], s38, v4
	v_addc_co_u32_e64 v5, s[22:23], v9, v5, s[22:23]
	v_add_co_u32_e64 v4, s[22:23], v4, v10
	v_addc_co_u32_e64 v5, s[22:23], 0, v5, s[22:23]
	global_store_short v[4:5], v8, off
.LBB14_53:
	;; [unrolled: 23-line block ×4, first 2 shown]
	s_or_b64 exec, exec, s[50:51]
	s_lshl_b64 s[28:29], s[30:31], 3
	s_add_u32 s28, s40, s28
	s_addc_u32 s29, s41, s29
	v_lshlrev_b32_e32 v4, 3, v12
	v_mov_b32_e32 v5, s29
	v_add_co_u32_e64 v4, s[28:29], s28, v4
	v_addc_co_u32_e64 v5, s[28:29], 0, v5, s[28:29]
	v_lshlrev_b32_e32 v7, 3, v7
	v_add_co_u32_e64 v18, s[28:29], v4, v7
	v_addc_co_u32_e64 v19, s[28:29], 0, v5, s[28:29]
                                        ; implicit-def: $vgpr4_vgpr5
	s_and_saveexec_b64 s[28:29], vcc
	s_xor_b64 s[28:29], exec, s[28:29]
	s_cbranch_execnz .LBB14_127
; %bb.58:
	s_or_b64 exec, exec, s[28:29]
                                        ; implicit-def: $vgpr8_vgpr9
	s_and_saveexec_b64 s[28:29], s[0:1]
	s_cbranch_execnz .LBB14_128
.LBB14_59:
	s_or_b64 exec, exec, s[28:29]
                                        ; implicit-def: $vgpr10_vgpr11
	s_and_saveexec_b64 s[0:1], s[2:3]
	s_cbranch_execnz .LBB14_129
.LBB14_60:
	s_or_b64 exec, exec, s[0:1]
                                        ; implicit-def: $vgpr12_vgpr13
	s_and_saveexec_b64 s[0:1], s[26:27]
	s_cbranch_execnz .LBB14_130
.LBB14_61:
	s_or_b64 exec, exec, s[0:1]
                                        ; implicit-def: $vgpr14_vgpr15
	s_and_saveexec_b64 s[0:1], s[8:9]
	s_cbranch_execnz .LBB14_131
.LBB14_62:
	s_or_b64 exec, exec, s[0:1]
                                        ; implicit-def: $vgpr16_vgpr17
	s_and_saveexec_b64 s[0:1], s[10:11]
	s_cbranch_execz .LBB14_64
.LBB14_63:
	global_load_dwordx2 v[16:17], v[18:19], off offset:2560
.LBB14_64:
	s_or_b64 exec, exec, s[0:1]
	v_mov_b32_e32 v33, 0
	v_mov_b32_e32 v35, 0
	s_and_saveexec_b64 s[0:1], s[14:15]
	s_cbranch_execz .LBB14_66
; %bb.65:
	ds_read_u16 v7, v32 offset:2048
	s_waitcnt lgkmcnt(0)
	v_lshrrev_b32_e32 v7, s48, v7
	v_and_b32_e32 v35, s33, v7
.LBB14_66:
	s_or_b64 exec, exec, s[0:1]
	s_and_saveexec_b64 s[0:1], s[16:17]
	s_cbranch_execz .LBB14_68
; %bb.67:
	ds_read_u16 v7, v32 offset:4096
	s_waitcnt lgkmcnt(0)
	v_lshrrev_b32_e32 v7, s48, v7
	v_and_b32_e32 v33, s33, v7
.LBB14_68:
	s_or_b64 exec, exec, s[0:1]
	v_mov_b32_e32 v18, 0
	v_mov_b32_e32 v34, 0
	s_and_saveexec_b64 s[0:1], s[18:19]
	s_cbranch_execz .LBB14_70
; %bb.69:
	ds_read_u16 v7, v32 offset:6144
	s_waitcnt lgkmcnt(0)
	v_lshrrev_b32_e32 v7, s48, v7
	v_and_b32_e32 v34, s33, v7
.LBB14_70:
	s_or_b64 exec, exec, s[0:1]
	s_and_saveexec_b64 s[0:1], s[20:21]
	s_cbranch_execz .LBB14_72
; %bb.71:
	ds_read_u16 v7, v32 offset:8192
	s_waitcnt lgkmcnt(0)
	v_lshrrev_b32_e32 v7, s48, v7
	v_and_b32_e32 v18, s33, v7
.LBB14_72:
	;; [unrolled: 20-line block ×3, first 2 shown]
	s_or_b64 exec, exec, s[0:1]
	v_lshlrev_b32_e32 v27, 3, v27
	s_barrier
	s_waitcnt vmcnt(0)
	ds_write_b64 v27, v[4:5] offset:2048
	v_lshlrev_b32_e32 v4, 3, v26
	ds_write_b64 v4, v[8:9] offset:2048
	v_lshlrev_b32_e32 v4, 3, v25
	;; [unrolled: 2-line block ×6, first 2 shown]
	s_waitcnt lgkmcnt(0)
	s_barrier
	s_and_saveexec_b64 s[0:1], s[14:15]
	s_cbranch_execnz .LBB14_132
; %bb.77:
	s_or_b64 exec, exec, s[0:1]
	s_and_saveexec_b64 s[0:1], s[16:17]
	s_cbranch_execnz .LBB14_133
.LBB14_78:
	s_or_b64 exec, exec, s[0:1]
	s_and_saveexec_b64 s[0:1], s[18:19]
	s_cbranch_execnz .LBB14_134
.LBB14_79:
	s_or_b64 exec, exec, s[0:1]
	s_and_saveexec_b64 s[0:1], s[20:21]
	s_cbranch_execnz .LBB14_135
.LBB14_80:
	s_or_b64 exec, exec, s[0:1]
	s_and_saveexec_b64 s[0:1], s[22:23]
	s_cbranch_execnz .LBB14_136
.LBB14_81:
	s_or_b64 exec, exec, s[0:1]
	s_and_saveexec_b64 s[0:1], s[24:25]
	s_cbranch_execz .LBB14_83
.LBB14_82:
	v_lshlrev_b32_e32 v5, 3, v7
	ds_read_b64 v[8:9], v5
	ds_read_b64 v[4:5], v4 offset:43008
	v_mov_b32_e32 v7, s43
	s_waitcnt lgkmcnt(1)
	v_lshlrev_b64 v[8:9], 3, v[8:9]
	v_add_co_u32_e32 v8, vcc, s42, v8
	v_addc_co_u32_e32 v7, vcc, v7, v9, vcc
	v_lshlrev_b32_e32 v9, 3, v31
	v_add_co_u32_e32 v8, vcc, v8, v9
	v_addc_co_u32_e32 v9, vcc, 0, v7, vcc
	s_waitcnt lgkmcnt(0)
	global_store_dwordx2 v[8:9], v[4:5], off
.LBB14_83:
	s_or_b64 exec, exec, s[0:1]
	s_add_i32 s7, s7, -1
	s_cmp_eq_u32 s6, s7
	s_cselect_b64 s[0:1], -1, 0
	s_and_b64 s[2:3], s[12:13], s[0:1]
	s_mov_b64 s[0:1], 0
	s_mov_b64 s[10:11], 0
                                        ; implicit-def: $vgpr4_vgpr5
	s_and_saveexec_b64 s[8:9], s[2:3]
	s_xor_b64 s[2:3], exec, s[8:9]
; %bb.84:
	v_add_co_u32_e32 v4, vcc, v2, v20
	s_mov_b64 s[10:11], exec
	v_mov_b32_e32 v7, 0
	v_addc_co_u32_e32 v5, vcc, 0, v3, vcc
; %bb.85:
	s_or_b64 exec, exec, s[2:3]
	s_and_b64 vcc, exec, s[0:1]
	s_cbranch_vccnz .LBB14_87
	s_branch .LBB14_124
.LBB14_86:
	s_mov_b64 s[10:11], 0
                                        ; implicit-def: $vgpr4_vgpr5
                                        ; implicit-def: $vgpr6_vgpr7
	s_cbranch_execz .LBB14_124
.LBB14_87:
	v_and_b32_e32 v6, 0x3ff, v0
	s_mov_b32 s31, 0
	s_lshl_b64 s[0:1], s[30:31], 1
	v_mbcnt_hi_u32_b32 v11, -1, v1
	v_and_b32_e32 v1, 0x3c0, v6
	s_add_u32 s0, s36, s0
	v_mul_u32_u24_e32 v10, 6, v1
	v_lshlrev_b32_e32 v1, 1, v11
	v_add_co_u32_e32 v1, vcc, s0, v1
	s_load_dword s7, s[4:5], 0x50
	s_load_dword s0, s[4:5], 0x5c
	s_addc_u32 s1, s37, s1
	v_mov_b32_e32 v3, s1
	v_addc_co_u32_e32 v3, vcc, 0, v3, vcc
	v_lshlrev_b32_e32 v4, 1, v10
	s_add_u32 s1, s4, 0x50
	v_add_co_u32_e32 v12, vcc, v1, v4
	s_addc_u32 s2, s5, 0
	s_waitcnt lgkmcnt(0)
	s_lshr_b32 s3, s0, 16
	v_addc_co_u32_e32 v13, vcc, 0, v3, vcc
	s_cmp_lt_u32 s6, s7
	global_load_ushort v1, v[12:13], off
	s_cselect_b32 s0, 12, 18
	s_add_u32 s0, s1, s0
	v_mov_b32_e32 v2, 0
	s_addc_u32 s1, s2, 0
	global_load_ushort v3, v2, s[0:1]
	v_mul_u32_u24_e32 v5, 5, v6
	v_lshlrev_b32_e32 v5, 2, v5
	ds_write2_b32 v5, v2, v2 offset0:16 offset1:17
	ds_write2_b32 v5, v2, v2 offset0:18 offset1:19
	ds_write_b32 v5, v2 offset:80
	global_load_ushort v9, v[12:13], off offset:128
	global_load_ushort v15, v[12:13], off offset:256
	;; [unrolled: 1-line block ×5, first 2 shown]
	v_bfe_u32 v4, v0, 10, 10
	v_bfe_u32 v0, v0, 20, 10
	v_mad_u32_u24 v0, v0, s3, v4
	s_lshl_b32 s0, -1, s49
	s_not_b32 s14, s0
	s_waitcnt lgkmcnt(0)
	s_barrier
	s_waitcnt lgkmcnt(0)
	; wave barrier
	s_waitcnt vmcnt(6)
	v_xor_b32_e32 v4, -1, v1
	v_lshrrev_b32_sdwa v1, s48, v4 dst_sel:DWORD dst_unused:UNUSED_PAD src0_sel:DWORD src1_sel:WORD_0
	v_and_b32_e32 v8, s14, v1
	s_waitcnt vmcnt(5)
	v_mad_u64_u32 v[0:1], s[0:1], v0, v3, v[6:7]
	v_and_b32_e32 v7, 1, v8
	v_lshrrev_b32_e32 v18, 6, v0
	v_add_co_u32_e32 v0, vcc, -1, v7
	v_lshlrev_b32_e32 v3, 30, v8
	v_addc_co_u32_e64 v12, s[0:1], 0, -1, vcc
	v_mul_u32_u24_e32 v1, 17, v8
	v_cmp_ne_u32_e32 vcc, 0, v7
	v_cmp_gt_i64_e64 s[0:1], 0, v[2:3]
	v_not_b32_e32 v13, v3
	v_lshlrev_b32_e32 v3, 29, v8
	v_add_lshl_u32 v7, v18, v1, 2
	v_xor_b32_e32 v1, vcc_hi, v12
	v_xor_b32_e32 v0, vcc_lo, v0
	v_ashrrev_i32_e32 v12, 31, v13
	v_cmp_gt_i64_e32 vcc, 0, v[2:3]
	v_not_b32_e32 v13, v3
	v_lshlrev_b32_e32 v3, 28, v8
	v_and_b32_e32 v1, exec_hi, v1
	v_and_b32_e32 v0, exec_lo, v0
	v_xor_b32_e32 v14, s1, v12
	v_xor_b32_e32 v12, s0, v12
	v_ashrrev_i32_e32 v13, 31, v13
	v_cmp_gt_i64_e64 s[0:1], 0, v[2:3]
	v_not_b32_e32 v16, v3
	v_lshlrev_b32_e32 v3, 27, v8
	v_and_b32_e32 v1, v1, v14
	v_and_b32_e32 v0, v0, v12
	v_xor_b32_e32 v12, vcc_hi, v13
	v_xor_b32_e32 v13, vcc_lo, v13
	v_ashrrev_i32_e32 v14, 31, v16
	v_cmp_gt_i64_e32 vcc, 0, v[2:3]
	v_not_b32_e32 v3, v3
	v_and_b32_e32 v1, v1, v12
	v_and_b32_e32 v0, v0, v13
	v_xor_b32_e32 v12, s1, v14
	v_xor_b32_e32 v13, s0, v14
	v_ashrrev_i32_e32 v3, 31, v3
	v_and_b32_e32 v1, v1, v12
	v_and_b32_e32 v0, v0, v13
	v_xor_b32_e32 v12, vcc_hi, v3
	v_xor_b32_e32 v3, vcc_lo, v3
	v_and_b32_e32 v0, v0, v3
	v_lshlrev_b32_e32 v3, 26, v8
	v_cmp_gt_i64_e32 vcc, 0, v[2:3]
	v_not_b32_e32 v3, v3
	v_ashrrev_i32_e32 v3, 31, v3
	v_and_b32_e32 v1, v1, v12
	v_xor_b32_e32 v12, vcc_hi, v3
	v_xor_b32_e32 v3, vcc_lo, v3
	v_and_b32_e32 v0, v0, v3
	v_lshlrev_b32_e32 v3, 25, v8
	v_cmp_gt_i64_e32 vcc, 0, v[2:3]
	v_not_b32_e32 v3, v3
	v_ashrrev_i32_e32 v3, 31, v3
	;; [unrolled: 8-line block ×3, first 2 shown]
	v_xor_b32_e32 v8, vcc_hi, v3
	v_xor_b32_e32 v3, vcc_lo, v3
	v_and_b32_e32 v1, v1, v12
	v_and_b32_e32 v0, v0, v3
	;; [unrolled: 1-line block ×3, first 2 shown]
	v_mbcnt_lo_u32_b32 v3, v0, 0
	v_mbcnt_hi_u32_b32 v8, v1, v3
	v_cmp_eq_u32_e32 vcc, 0, v8
	v_cmp_ne_u64_e64 s[0:1], 0, v[0:1]
	s_and_b64 s[2:3], s[0:1], vcc
	s_and_saveexec_b64 s[0:1], s[2:3]
	s_cbranch_execz .LBB14_89
; %bb.88:
	v_bcnt_u32_b32 v0, v0, 0
	v_bcnt_u32_b32 v0, v1, v0
	ds_write_b32 v7, v0 offset:64
.LBB14_89:
	s_or_b64 exec, exec, s[0:1]
	s_waitcnt vmcnt(4)
	v_xor_b32_e32 v9, -1, v9
	v_lshrrev_b32_sdwa v0, s48, v9 dst_sel:DWORD dst_unused:UNUSED_PAD src0_sel:DWORD src1_sel:WORD_0
	v_and_b32_e32 v0, s14, v0
	v_mul_u32_u24_e32 v1, 17, v0
	v_add_lshl_u32 v13, v18, v1, 2
	v_and_b32_e32 v1, 1, v0
	v_add_co_u32_e32 v3, vcc, -1, v1
	v_addc_co_u32_e64 v14, s[0:1], 0, -1, vcc
	v_cmp_ne_u32_e32 vcc, 0, v1
	v_xor_b32_e32 v3, vcc_lo, v3
	v_xor_b32_e32 v1, vcc_hi, v14
	v_and_b32_e32 v14, exec_lo, v3
	v_lshlrev_b32_e32 v3, 30, v0
	v_cmp_gt_i64_e32 vcc, 0, v[2:3]
	v_not_b32_e32 v3, v3
	v_ashrrev_i32_e32 v3, 31, v3
	v_xor_b32_e32 v16, vcc_hi, v3
	v_xor_b32_e32 v3, vcc_lo, v3
	v_and_b32_e32 v14, v14, v3
	v_lshlrev_b32_e32 v3, 29, v0
	v_cmp_gt_i64_e32 vcc, 0, v[2:3]
	v_not_b32_e32 v3, v3
	v_and_b32_e32 v1, exec_hi, v1
	v_ashrrev_i32_e32 v3, 31, v3
	v_and_b32_e32 v1, v1, v16
	v_xor_b32_e32 v16, vcc_hi, v3
	v_xor_b32_e32 v3, vcc_lo, v3
	v_and_b32_e32 v14, v14, v3
	v_lshlrev_b32_e32 v3, 28, v0
	v_cmp_gt_i64_e32 vcc, 0, v[2:3]
	v_not_b32_e32 v3, v3
	v_ashrrev_i32_e32 v3, 31, v3
	v_and_b32_e32 v1, v1, v16
	v_xor_b32_e32 v16, vcc_hi, v3
	v_xor_b32_e32 v3, vcc_lo, v3
	v_and_b32_e32 v14, v14, v3
	v_lshlrev_b32_e32 v3, 27, v0
	v_cmp_gt_i64_e32 vcc, 0, v[2:3]
	v_not_b32_e32 v3, v3
	;; [unrolled: 8-line block ×4, first 2 shown]
	v_ashrrev_i32_e32 v3, 31, v3
	v_and_b32_e32 v1, v1, v16
	v_xor_b32_e32 v16, vcc_hi, v3
	v_xor_b32_e32 v3, vcc_lo, v3
	v_and_b32_e32 v14, v14, v3
	v_lshlrev_b32_e32 v3, 24, v0
	v_not_b32_e32 v0, v3
	v_cmp_gt_i64_e32 vcc, 0, v[2:3]
	v_ashrrev_i32_e32 v0, 31, v0
	v_xor_b32_e32 v2, vcc_hi, v0
	v_xor_b32_e32 v0, vcc_lo, v0
	; wave barrier
	ds_read_b32 v12, v13 offset:64
	v_and_b32_e32 v1, v1, v16
	v_and_b32_e32 v0, v14, v0
	;; [unrolled: 1-line block ×3, first 2 shown]
	v_mbcnt_lo_u32_b32 v2, v0, 0
	v_mbcnt_hi_u32_b32 v14, v1, v2
	v_cmp_eq_u32_e32 vcc, 0, v14
	v_cmp_ne_u64_e64 s[0:1], 0, v[0:1]
	s_and_b64 s[2:3], s[0:1], vcc
	; wave barrier
	s_and_saveexec_b64 s[0:1], s[2:3]
	s_cbranch_execz .LBB14_91
; %bb.90:
	v_bcnt_u32_b32 v0, v0, 0
	v_bcnt_u32_b32 v0, v1, v0
	s_waitcnt lgkmcnt(0)
	v_add_u32_e32 v0, v12, v0
	ds_write_b32 v13, v0 offset:64
.LBB14_91:
	s_or_b64 exec, exec, s[0:1]
	s_waitcnt vmcnt(3)
	v_xor_b32_e32 v15, -1, v15
	v_lshrrev_b32_sdwa v0, s48, v15 dst_sel:DWORD dst_unused:UNUSED_PAD src0_sel:DWORD src1_sel:WORD_0
	v_and_b32_e32 v2, s14, v0
	v_and_b32_e32 v1, 1, v2
	v_add_co_u32_e32 v3, vcc, -1, v1
	v_addc_co_u32_e64 v20, s[0:1], 0, -1, vcc
	v_cmp_ne_u32_e32 vcc, 0, v1
	v_mul_u32_u24_e32 v0, 17, v2
	v_xor_b32_e32 v1, vcc_hi, v20
	v_add_lshl_u32 v19, v18, v0, 2
	v_mov_b32_e32 v0, 0
	v_and_b32_e32 v20, exec_hi, v1
	v_lshlrev_b32_e32 v1, 30, v2
	v_xor_b32_e32 v3, vcc_lo, v3
	v_cmp_gt_i64_e32 vcc, 0, v[0:1]
	v_not_b32_e32 v1, v1
	v_ashrrev_i32_e32 v1, 31, v1
	v_and_b32_e32 v3, exec_lo, v3
	v_xor_b32_e32 v22, vcc_hi, v1
	v_xor_b32_e32 v1, vcc_lo, v1
	v_and_b32_e32 v3, v3, v1
	v_lshlrev_b32_e32 v1, 29, v2
	v_cmp_gt_i64_e32 vcc, 0, v[0:1]
	v_not_b32_e32 v1, v1
	v_ashrrev_i32_e32 v1, 31, v1
	v_and_b32_e32 v20, v20, v22
	v_xor_b32_e32 v22, vcc_hi, v1
	v_xor_b32_e32 v1, vcc_lo, v1
	v_and_b32_e32 v3, v3, v1
	v_lshlrev_b32_e32 v1, 28, v2
	v_cmp_gt_i64_e32 vcc, 0, v[0:1]
	v_not_b32_e32 v1, v1
	v_ashrrev_i32_e32 v1, 31, v1
	v_and_b32_e32 v20, v20, v22
	;; [unrolled: 8-line block ×5, first 2 shown]
	v_xor_b32_e32 v22, vcc_hi, v1
	v_xor_b32_e32 v1, vcc_lo, v1
	v_and_b32_e32 v20, v20, v22
	v_and_b32_e32 v22, v3, v1
	v_lshlrev_b32_e32 v1, 24, v2
	v_cmp_gt_i64_e32 vcc, 0, v[0:1]
	v_not_b32_e32 v1, v1
	v_ashrrev_i32_e32 v1, 31, v1
	v_xor_b32_e32 v2, vcc_hi, v1
	v_xor_b32_e32 v1, vcc_lo, v1
	; wave barrier
	ds_read_b32 v16, v19 offset:64
	v_and_b32_e32 v3, v20, v2
	v_and_b32_e32 v2, v22, v1
	v_mbcnt_lo_u32_b32 v1, v2, 0
	v_mbcnt_hi_u32_b32 v20, v3, v1
	v_cmp_eq_u32_e32 vcc, 0, v20
	v_cmp_ne_u64_e64 s[0:1], 0, v[2:3]
	s_and_b64 s[2:3], s[0:1], vcc
	; wave barrier
	s_and_saveexec_b64 s[0:1], s[2:3]
	s_cbranch_execz .LBB14_93
; %bb.92:
	v_bcnt_u32_b32 v1, v2, 0
	v_bcnt_u32_b32 v1, v3, v1
	s_waitcnt lgkmcnt(0)
	v_add_u32_e32 v1, v16, v1
	ds_write_b32 v19, v1 offset:64
.LBB14_93:
	s_or_b64 exec, exec, s[0:1]
	s_waitcnt vmcnt(2)
	v_xor_b32_e32 v21, -1, v21
	v_lshrrev_b32_sdwa v1, s48, v21 dst_sel:DWORD dst_unused:UNUSED_PAD src0_sel:DWORD src1_sel:WORD_0
	v_and_b32_e32 v2, s14, v1
	v_mul_u32_u24_e32 v1, 17, v2
	v_add_lshl_u32 v24, v18, v1, 2
	v_and_b32_e32 v1, 1, v2
	v_add_co_u32_e32 v3, vcc, -1, v1
	v_addc_co_u32_e64 v25, s[0:1], 0, -1, vcc
	v_cmp_ne_u32_e32 vcc, 0, v1
	v_xor_b32_e32 v1, vcc_hi, v25
	v_and_b32_e32 v25, exec_hi, v1
	v_lshlrev_b32_e32 v1, 30, v2
	v_xor_b32_e32 v3, vcc_lo, v3
	v_cmp_gt_i64_e32 vcc, 0, v[0:1]
	v_not_b32_e32 v1, v1
	v_ashrrev_i32_e32 v1, 31, v1
	v_and_b32_e32 v3, exec_lo, v3
	v_xor_b32_e32 v26, vcc_hi, v1
	v_xor_b32_e32 v1, vcc_lo, v1
	v_and_b32_e32 v3, v3, v1
	v_lshlrev_b32_e32 v1, 29, v2
	v_cmp_gt_i64_e32 vcc, 0, v[0:1]
	v_not_b32_e32 v1, v1
	v_ashrrev_i32_e32 v1, 31, v1
	v_and_b32_e32 v25, v25, v26
	v_xor_b32_e32 v26, vcc_hi, v1
	v_xor_b32_e32 v1, vcc_lo, v1
	v_and_b32_e32 v3, v3, v1
	v_lshlrev_b32_e32 v1, 28, v2
	v_cmp_gt_i64_e32 vcc, 0, v[0:1]
	v_not_b32_e32 v1, v1
	v_ashrrev_i32_e32 v1, 31, v1
	v_and_b32_e32 v25, v25, v26
	;; [unrolled: 8-line block ×5, first 2 shown]
	v_xor_b32_e32 v26, vcc_hi, v1
	v_xor_b32_e32 v1, vcc_lo, v1
	v_and_b32_e32 v3, v3, v1
	v_lshlrev_b32_e32 v1, 24, v2
	v_cmp_gt_i64_e32 vcc, 0, v[0:1]
	v_not_b32_e32 v0, v1
	v_ashrrev_i32_e32 v0, 31, v0
	v_xor_b32_e32 v1, vcc_hi, v0
	v_xor_b32_e32 v0, vcc_lo, v0
	; wave barrier
	ds_read_b32 v22, v24 offset:64
	v_and_b32_e32 v25, v25, v26
	v_and_b32_e32 v0, v3, v0
	;; [unrolled: 1-line block ×3, first 2 shown]
	v_mbcnt_lo_u32_b32 v2, v0, 0
	v_mbcnt_hi_u32_b32 v25, v1, v2
	v_cmp_eq_u32_e32 vcc, 0, v25
	v_cmp_ne_u64_e64 s[0:1], 0, v[0:1]
	s_and_b64 s[2:3], s[0:1], vcc
	; wave barrier
	s_and_saveexec_b64 s[0:1], s[2:3]
	s_cbranch_execz .LBB14_95
; %bb.94:
	v_bcnt_u32_b32 v0, v0, 0
	v_bcnt_u32_b32 v0, v1, v0
	s_waitcnt lgkmcnt(0)
	v_add_u32_e32 v0, v22, v0
	ds_write_b32 v24, v0 offset:64
.LBB14_95:
	s_or_b64 exec, exec, s[0:1]
	s_waitcnt vmcnt(1)
	v_xor_b32_e32 v23, -1, v23
	v_lshrrev_b32_sdwa v0, s48, v23 dst_sel:DWORD dst_unused:UNUSED_PAD src0_sel:DWORD src1_sel:WORD_0
	v_and_b32_e32 v2, s14, v0
	v_and_b32_e32 v1, 1, v2
	v_add_co_u32_e32 v3, vcc, -1, v1
	v_addc_co_u32_e64 v28, s[0:1], 0, -1, vcc
	v_cmp_ne_u32_e32 vcc, 0, v1
	v_mul_u32_u24_e32 v0, 17, v2
	v_xor_b32_e32 v1, vcc_hi, v28
	v_add_lshl_u32 v27, v18, v0, 2
	v_mov_b32_e32 v0, 0
	v_and_b32_e32 v28, exec_hi, v1
	v_lshlrev_b32_e32 v1, 30, v2
	v_xor_b32_e32 v3, vcc_lo, v3
	v_cmp_gt_i64_e32 vcc, 0, v[0:1]
	v_not_b32_e32 v1, v1
	v_ashrrev_i32_e32 v1, 31, v1
	v_and_b32_e32 v3, exec_lo, v3
	v_xor_b32_e32 v29, vcc_hi, v1
	v_xor_b32_e32 v1, vcc_lo, v1
	v_and_b32_e32 v3, v3, v1
	v_lshlrev_b32_e32 v1, 29, v2
	v_cmp_gt_i64_e32 vcc, 0, v[0:1]
	v_not_b32_e32 v1, v1
	v_ashrrev_i32_e32 v1, 31, v1
	v_and_b32_e32 v28, v28, v29
	v_xor_b32_e32 v29, vcc_hi, v1
	v_xor_b32_e32 v1, vcc_lo, v1
	v_and_b32_e32 v3, v3, v1
	v_lshlrev_b32_e32 v1, 28, v2
	v_cmp_gt_i64_e32 vcc, 0, v[0:1]
	v_not_b32_e32 v1, v1
	v_ashrrev_i32_e32 v1, 31, v1
	v_and_b32_e32 v28, v28, v29
	;; [unrolled: 8-line block ×5, first 2 shown]
	v_xor_b32_e32 v29, vcc_hi, v1
	v_xor_b32_e32 v1, vcc_lo, v1
	v_and_b32_e32 v28, v28, v29
	v_and_b32_e32 v29, v3, v1
	v_lshlrev_b32_e32 v1, 24, v2
	v_cmp_gt_i64_e32 vcc, 0, v[0:1]
	v_not_b32_e32 v1, v1
	v_ashrrev_i32_e32 v1, 31, v1
	v_xor_b32_e32 v2, vcc_hi, v1
	v_xor_b32_e32 v1, vcc_lo, v1
	; wave barrier
	ds_read_b32 v26, v27 offset:64
	v_and_b32_e32 v3, v28, v2
	v_and_b32_e32 v2, v29, v1
	v_mbcnt_lo_u32_b32 v1, v2, 0
	v_mbcnt_hi_u32_b32 v28, v3, v1
	v_cmp_eq_u32_e32 vcc, 0, v28
	v_cmp_ne_u64_e64 s[0:1], 0, v[2:3]
	s_and_b64 s[2:3], s[0:1], vcc
	; wave barrier
	s_and_saveexec_b64 s[0:1], s[2:3]
	s_cbranch_execz .LBB14_97
; %bb.96:
	v_bcnt_u32_b32 v1, v2, 0
	v_bcnt_u32_b32 v1, v3, v1
	s_waitcnt lgkmcnt(0)
	v_add_u32_e32 v1, v26, v1
	ds_write_b32 v27, v1 offset:64
.LBB14_97:
	s_or_b64 exec, exec, s[0:1]
	s_waitcnt vmcnt(0)
	v_xor_b32_e32 v29, -1, v17
	v_lshrrev_b32_sdwa v1, s48, v29 dst_sel:DWORD dst_unused:UNUSED_PAD src0_sel:DWORD src1_sel:WORD_0
	v_and_b32_e32 v2, s14, v1
	v_mul_u32_u24_e32 v1, 17, v2
	v_add_lshl_u32 v17, v18, v1, 2
	v_and_b32_e32 v1, 1, v2
	v_add_co_u32_e32 v3, vcc, -1, v1
	v_addc_co_u32_e64 v18, s[0:1], 0, -1, vcc
	v_cmp_ne_u32_e32 vcc, 0, v1
	v_xor_b32_e32 v1, vcc_hi, v18
	v_and_b32_e32 v18, exec_hi, v1
	v_lshlrev_b32_e32 v1, 30, v2
	v_xor_b32_e32 v3, vcc_lo, v3
	v_cmp_gt_i64_e32 vcc, 0, v[0:1]
	v_not_b32_e32 v1, v1
	v_ashrrev_i32_e32 v1, 31, v1
	v_and_b32_e32 v3, exec_lo, v3
	v_xor_b32_e32 v32, vcc_hi, v1
	v_xor_b32_e32 v1, vcc_lo, v1
	v_and_b32_e32 v3, v3, v1
	v_lshlrev_b32_e32 v1, 29, v2
	v_cmp_gt_i64_e32 vcc, 0, v[0:1]
	v_not_b32_e32 v1, v1
	v_ashrrev_i32_e32 v1, 31, v1
	v_and_b32_e32 v18, v18, v32
	v_xor_b32_e32 v32, vcc_hi, v1
	v_xor_b32_e32 v1, vcc_lo, v1
	v_and_b32_e32 v3, v3, v1
	v_lshlrev_b32_e32 v1, 28, v2
	v_cmp_gt_i64_e32 vcc, 0, v[0:1]
	v_not_b32_e32 v1, v1
	v_ashrrev_i32_e32 v1, 31, v1
	v_and_b32_e32 v18, v18, v32
	;; [unrolled: 8-line block ×5, first 2 shown]
	v_xor_b32_e32 v32, vcc_hi, v1
	v_xor_b32_e32 v1, vcc_lo, v1
	v_and_b32_e32 v3, v3, v1
	v_lshlrev_b32_e32 v1, 24, v2
	v_cmp_gt_i64_e32 vcc, 0, v[0:1]
	v_not_b32_e32 v0, v1
	v_ashrrev_i32_e32 v0, 31, v0
	v_xor_b32_e32 v1, vcc_hi, v0
	v_xor_b32_e32 v0, vcc_lo, v0
	; wave barrier
	ds_read_b32 v30, v17 offset:64
	v_and_b32_e32 v18, v18, v32
	v_and_b32_e32 v0, v3, v0
	;; [unrolled: 1-line block ×3, first 2 shown]
	v_mbcnt_lo_u32_b32 v2, v0, 0
	v_mbcnt_hi_u32_b32 v32, v1, v2
	v_cmp_eq_u32_e32 vcc, 0, v32
	v_cmp_ne_u64_e64 s[0:1], 0, v[0:1]
	v_add_u32_e32 v31, 64, v5
	s_and_b64 s[2:3], s[0:1], vcc
	; wave barrier
	s_and_saveexec_b64 s[0:1], s[2:3]
	s_cbranch_execz .LBB14_99
; %bb.98:
	v_bcnt_u32_b32 v0, v0, 0
	v_bcnt_u32_b32 v0, v1, v0
	s_waitcnt lgkmcnt(0)
	v_add_u32_e32 v0, v30, v0
	ds_write_b32 v17, v0 offset:64
.LBB14_99:
	s_or_b64 exec, exec, s[0:1]
	; wave barrier
	s_waitcnt lgkmcnt(0)
	s_barrier
	ds_read2_b32 v[2:3], v5 offset0:16 offset1:17
	ds_read2_b32 v[0:1], v31 offset0:2 offset1:3
	ds_read_b32 v18, v31 offset:16
	v_cmp_lt_u32_e64 s[8:9], 31, v11
	s_waitcnt lgkmcnt(1)
	v_add3_u32 v33, v3, v2, v0
	s_waitcnt lgkmcnt(0)
	v_add3_u32 v18, v33, v1, v18
	v_and_b32_e32 v33, 15, v11
	v_cmp_eq_u32_e32 vcc, 0, v33
	v_mov_b32_dpp v34, v18 row_shr:1 row_mask:0xf bank_mask:0xf
	v_cndmask_b32_e64 v34, v34, 0, vcc
	v_add_u32_e32 v18, v34, v18
	v_cmp_lt_u32_e64 s[0:1], 1, v33
	v_cmp_lt_u32_e64 s[2:3], 3, v33
	v_mov_b32_dpp v34, v18 row_shr:2 row_mask:0xf bank_mask:0xf
	v_cndmask_b32_e64 v34, 0, v34, s[0:1]
	v_add_u32_e32 v18, v18, v34
	v_cmp_lt_u32_e64 s[4:5], 7, v33
	s_nop 0
	v_mov_b32_dpp v34, v18 row_shr:4 row_mask:0xf bank_mask:0xf
	v_cndmask_b32_e64 v34, 0, v34, s[2:3]
	v_add_u32_e32 v18, v18, v34
	s_nop 1
	v_mov_b32_dpp v34, v18 row_shr:8 row_mask:0xf bank_mask:0xf
	v_cndmask_b32_e64 v33, 0, v34, s[4:5]
	v_add_u32_e32 v18, v18, v33
	v_bfe_i32 v34, v11, 4, 1
	s_nop 0
	v_mov_b32_dpp v33, v18 row_bcast:15 row_mask:0xf bank_mask:0xf
	v_and_b32_e32 v33, v34, v33
	v_add_u32_e32 v18, v18, v33
	v_and_b32_e32 v34, 63, v6
	s_nop 0
	v_mov_b32_dpp v33, v18 row_bcast:31 row_mask:0xf bank_mask:0xf
	v_cndmask_b32_e64 v33, 0, v33, s[8:9]
	v_add_u32_e32 v18, v18, v33
	v_lshrrev_b32_e32 v33, 6, v6
	v_cmp_eq_u32_e64 s[8:9], 63, v34
	s_and_saveexec_b64 s[12:13], s[8:9]
	s_cbranch_execz .LBB14_101
; %bb.100:
	v_lshlrev_b32_e32 v34, 2, v33
	ds_write_b32 v34, v18
.LBB14_101:
	s_or_b64 exec, exec, s[12:13]
	v_cmp_gt_u32_e64 s[8:9], 16, v6
	s_waitcnt lgkmcnt(0)
	s_barrier
	s_and_saveexec_b64 s[12:13], s[8:9]
	s_cbranch_execz .LBB14_103
; %bb.102:
	v_lshlrev_b32_e32 v34, 2, v6
	ds_read_b32 v35, v34
	s_waitcnt lgkmcnt(0)
	s_nop 0
	v_mov_b32_dpp v36, v35 row_shr:1 row_mask:0xf bank_mask:0xf
	v_cndmask_b32_e64 v36, v36, 0, vcc
	v_add_u32_e32 v35, v36, v35
	s_nop 1
	v_mov_b32_dpp v36, v35 row_shr:2 row_mask:0xf bank_mask:0xf
	v_cndmask_b32_e64 v36, 0, v36, s[0:1]
	v_add_u32_e32 v35, v35, v36
	s_nop 1
	v_mov_b32_dpp v36, v35 row_shr:4 row_mask:0xf bank_mask:0xf
	v_cndmask_b32_e64 v36, 0, v36, s[2:3]
	;; [unrolled: 4-line block ×3, first 2 shown]
	v_add_u32_e32 v35, v35, v36
	ds_write_b32 v34, v35
.LBB14_103:
	s_or_b64 exec, exec, s[12:13]
	v_cmp_lt_u32_e32 vcc, 63, v6
	v_mov_b32_e32 v34, 0
	s_waitcnt lgkmcnt(0)
	s_barrier
	s_and_saveexec_b64 s[0:1], vcc
	s_cbranch_execz .LBB14_105
; %bb.104:
	v_lshl_add_u32 v33, v33, 2, -4
	ds_read_b32 v34, v33
.LBB14_105:
	s_or_b64 exec, exec, s[0:1]
	v_add_u32_e32 v33, -1, v11
	v_and_b32_e32 v35, 64, v11
	v_cmp_lt_i32_e32 vcc, v33, v35
	v_cndmask_b32_e32 v33, v33, v11, vcc
	s_waitcnt lgkmcnt(0)
	v_add_u32_e32 v18, v34, v18
	v_lshlrev_b32_e32 v33, 2, v33
	ds_bpermute_b32 v18, v33, v18
	v_cmp_eq_u32_e32 vcc, 0, v11
	s_movk_i32 s2, 0xff
	s_movk_i32 s3, 0x100
	v_cmp_lt_u32_e64 s[0:1], s2, v6
	s_waitcnt lgkmcnt(0)
	v_cndmask_b32_e32 v18, v18, v34, vcc
	v_cmp_ne_u32_e32 vcc, 0, v6
	v_cndmask_b32_e32 v18, 0, v18, vcc
	v_add_u32_e32 v2, v18, v2
	v_add_u32_e32 v3, v2, v3
	;; [unrolled: 1-line block ×4, first 2 shown]
	ds_write2_b32 v5, v18, v2 offset0:16 offset1:17
	ds_write2_b32 v31, v3, v0 offset0:2 offset1:3
	ds_write_b32 v31, v1 offset:16
	s_waitcnt lgkmcnt(0)
	s_barrier
	ds_read_b32 v2, v7 offset:64
	ds_read_b32 v3, v13 offset:64
	;; [unrolled: 1-line block ×6, first 2 shown]
	v_cmp_gt_u32_e32 vcc, s3, v6
	v_pk_mov_b32 v[0:1], 0, 0
                                        ; implicit-def: $vgpr13
	s_and_saveexec_b64 s[4:5], vcc
	s_cbranch_execz .LBB14_109
; %bb.106:
	v_mul_u32_u24_e32 v0, 17, v6
	v_lshlrev_b32_e32 v13, 2, v0
	ds_read_b32 v0, v13 offset:64
	v_cmp_ne_u32_e64 s[2:3], s2, v6
	v_mov_b32_e32 v1, 0x1800
	s_and_saveexec_b64 s[8:9], s[2:3]
	s_cbranch_execz .LBB14_108
; %bb.107:
	ds_read_b32 v1, v13 offset:132
.LBB14_108:
	s_or_b64 exec, exec, s[8:9]
	s_waitcnt lgkmcnt(0)
	v_sub_u32_e32 v13, v1, v0
	v_mov_b32_e32 v1, 0
.LBB14_109:
	s_or_b64 exec, exec, s[4:5]
	s_waitcnt lgkmcnt(5)
	v_add_u32_e32 v19, v2, v8
	s_waitcnt lgkmcnt(4)
	v_add3_u32 v18, v14, v12, v3
	v_lshlrev_b32_e32 v2, 1, v19
	s_waitcnt lgkmcnt(3)
	v_add3_u32 v17, v20, v16, v5
	s_waitcnt lgkmcnt(0)
	s_barrier
	ds_write_b16 v2, v4 offset:2048
	v_lshlrev_b32_e32 v2, 1, v18
	v_add3_u32 v16, v25, v22, v7
	ds_write_b16 v2, v9 offset:2048
	v_lshlrev_b32_e32 v2, 1, v17
	v_add3_u32 v14, v28, v26, v24
	;; [unrolled: 3-line block ×3, first 2 shown]
	ds_write_b16 v2, v21 offset:2048
	v_lshlrev_b32_e32 v2, 1, v14
	ds_write_b16 v2, v23 offset:2048
	v_lshlrev_b32_e32 v2, 1, v12
	ds_write_b16 v2, v29 offset:2048
	s_waitcnt lgkmcnt(0)
	s_barrier
	s_and_saveexec_b64 s[2:3], s[0:1]
	s_xor_b64 s[0:1], exec, s[2:3]
; %bb.110:
	v_mov_b32_e32 v7, 0
; %bb.111:
	s_andn2_saveexec_b64 s[2:3], s[0:1]
	s_cbranch_execz .LBB14_121
; %bb.112:
	v_lshl_or_b32 v2, s6, 8, v6
	v_mov_b32_e32 v3, 0
	v_lshlrev_b64 v[4:5], 2, v[2:3]
	v_mov_b32_e32 v7, s35
	v_add_co_u32_e64 v4, s[0:1], s34, v4
	v_addc_co_u32_e64 v5, s[0:1], v7, v5, s[0:1]
	v_or_b32_e32 v2, 2.0, v13
	s_mov_b64 s[4:5], 0
	s_brev_b32 s15, 1
	s_mov_b32 s16, s6
	v_mov_b32_e32 v15, 0
	global_store_dword v[4:5], v2, off
                                        ; implicit-def: $sgpr0_sgpr1
	s_branch .LBB14_115
.LBB14_113:                             ;   in Loop: Header=BB14_115 Depth=1
	s_or_b64 exec, exec, s[12:13]
.LBB14_114:                             ;   in Loop: Header=BB14_115 Depth=1
	s_or_b64 exec, exec, s[8:9]
	v_and_b32_e32 v8, 0x3fffffff, v20
	v_add_u32_e32 v15, v8, v15
	v_cmp_eq_u32_e64 s[0:1], s15, v2
	s_and_b64 s[8:9], exec, s[0:1]
	s_or_b64 s[4:5], s[8:9], s[4:5]
	s_andn2_b64 exec, exec, s[4:5]
	s_cbranch_execz .LBB14_120
.LBB14_115:                             ; =>This Loop Header: Depth=1
                                        ;     Child Loop BB14_118 Depth 2
	s_or_b64 s[0:1], s[0:1], exec
	s_cmp_eq_u32 s16, 0
	s_cbranch_scc1 .LBB14_119
; %bb.116:                              ;   in Loop: Header=BB14_115 Depth=1
	s_add_i32 s16, s16, -1
	v_lshl_or_b32 v2, s16, 8, v6
	v_lshlrev_b64 v[8:9], 2, v[2:3]
	v_add_co_u32_e64 v8, s[0:1], s34, v8
	v_addc_co_u32_e64 v9, s[0:1], v7, v9, s[0:1]
	global_load_dword v20, v[8:9], off glc
	s_waitcnt vmcnt(0)
	v_and_b32_e32 v2, -2.0, v20
	v_cmp_eq_u32_e64 s[0:1], 0, v2
	s_and_saveexec_b64 s[8:9], s[0:1]
	s_cbranch_execz .LBB14_114
; %bb.117:                              ;   in Loop: Header=BB14_115 Depth=1
	s_mov_b64 s[12:13], 0
.LBB14_118:                             ;   Parent Loop BB14_115 Depth=1
                                        ; =>  This Inner Loop Header: Depth=2
	global_load_dword v20, v[8:9], off glc
	s_waitcnt vmcnt(0)
	v_and_b32_e32 v2, -2.0, v20
	v_cmp_ne_u32_e64 s[0:1], 0, v2
	s_or_b64 s[12:13], s[0:1], s[12:13]
	s_andn2_b64 exec, exec, s[12:13]
	s_cbranch_execnz .LBB14_118
	s_branch .LBB14_113
.LBB14_119:                             ;   in Loop: Header=BB14_115 Depth=1
                                        ; implicit-def: $sgpr16
	s_and_b64 s[8:9], exec, s[0:1]
	s_or_b64 s[4:5], s[8:9], s[4:5]
	s_andn2_b64 exec, exec, s[4:5]
	s_cbranch_execnz .LBB14_115
.LBB14_120:
	s_or_b64 exec, exec, s[4:5]
	v_add_u32_e32 v2, v15, v13
	v_or_b32_e32 v2, 0x80000000, v2
	global_store_dword v[4:5], v2, off
	v_lshlrev_b32_e32 v4, 3, v6
	global_load_dwordx2 v[2:3], v4, s[44:45]
	v_sub_co_u32_e64 v5, s[0:1], v15, v0
	v_subb_co_u32_e64 v8, s[0:1], 0, v1, s[0:1]
	v_mov_b32_e32 v7, 0
	s_waitcnt vmcnt(0)
	v_add_co_u32_e64 v2, s[0:1], v5, v2
	v_addc_co_u32_e64 v3, s[0:1], v8, v3, s[0:1]
	ds_write_b64 v4, v[2:3]
.LBB14_121:
	s_or_b64 exec, exec, s[2:3]
	v_lshlrev_b32_e32 v2, 1, v6
	s_waitcnt lgkmcnt(0)
	s_barrier
	ds_read_u16 v2, v2 offset:2048
	v_lshlrev_b32_e32 v15, 1, v6
	ds_read_u16 v20, v15 offset:4096
	ds_read_u16 v32, v15 offset:8192
	;; [unrolled: 1-line block ×3, first 2 shown]
	v_mov_b32_e32 v8, s39
	v_or_b32_e32 v37, 0x800, v15
	s_waitcnt lgkmcnt(3)
	v_lshrrev_b32_sdwa v3, s48, v2 dst_sel:DWORD dst_unused:UNUSED_PAD src0_sel:DWORD src1_sel:WORD_0
	v_and_b32_e32 v3, s14, v3
	v_xor_b32_e32 v21, -1, v2
	v_lshlrev_b32_e32 v34, 3, v3
	s_waitcnt lgkmcnt(2)
	v_lshrrev_b32_sdwa v2, s48, v20 dst_sel:DWORD dst_unused:UNUSED_PAD src0_sel:DWORD src1_sel:WORD_0
	v_and_b32_e32 v4, s14, v2
	ds_read_b64 v[2:3], v34
	v_lshlrev_b32_e32 v35, 3, v4
	ds_read_u16 v22, v15 offset:6144
	ds_read_b64 v[4:5], v35
	ds_read_u16 v36, v15 offset:10240
	s_waitcnt lgkmcnt(5)
	v_lshrrev_b32_sdwa v24, s48, v32 dst_sel:DWORD dst_unused:UNUSED_PAD src0_sel:DWORD src1_sel:WORD_0
	v_and_b32_e32 v24, s14, v24
	s_waitcnt lgkmcnt(3)
	v_lshlrev_b64 v[2:3], 1, v[2:3]
	v_add_co_u32_e64 v9, s[0:1], s38, v2
	v_addc_co_u32_e64 v23, s[0:1], v8, v3, s[0:1]
	v_lshlrev_b64 v[2:3], 1, v[6:7]
	v_add_co_u32_e64 v8, s[0:1], v9, v2
	v_addc_co_u32_e64 v9, s[0:1], v23, v3, s[0:1]
	s_waitcnt lgkmcnt(1)
	v_lshlrev_b64 v[4:5], 1, v[4:5]
	global_store_short v[8:9], v21, off
	v_mov_b32_e32 v9, s39
	v_add_co_u32_e64 v4, s[0:1], s38, v4
	v_addc_co_u32_e64 v5, s[0:1], v9, v5, s[0:1]
	v_add_co_u32_e64 v2, s[0:1], v4, v2
	v_addc_co_u32_e64 v3, s[0:1], v5, v3, s[0:1]
	s_lshl_b64 s[0:1], s[30:31], 3
	v_xor_b32_e32 v8, -1, v20
	s_add_u32 s0, s40, s0
	global_store_short v[2:3], v8, off offset:2048
	s_addc_u32 s1, s41, s1
	v_lshlrev_b32_e32 v2, 3, v11
	v_mov_b32_e32 v3, s1
	v_add_co_u32_e64 v2, s[0:1], s0, v2
	v_addc_co_u32_e64 v3, s[0:1], 0, v3, s[0:1]
	v_lshlrev_b32_e32 v4, 3, v10
	v_add_co_u32_e64 v2, s[0:1], v2, v4
	v_addc_co_u32_e64 v3, s[0:1], 0, v3, s[0:1]
	v_lshrrev_b32_sdwa v8, s48, v22 dst_sel:DWORD dst_unused:UNUSED_PAD src0_sel:DWORD src1_sel:WORD_0
	global_load_dwordx2 v[4:5], v[2:3], off
	v_and_b32_e32 v15, s14, v8
	global_load_dwordx2 v[8:9], v[2:3], off offset:512
	global_load_dwordx2 v[10:11], v[2:3], off offset:1024
	;; [unrolled: 1-line block ×3, first 2 shown]
	v_xor_b32_e32 v39, -1, v22
	global_load_dwordx2 v[22:23], v[2:3], off offset:2048
	v_lshlrev_b32_e32 v40, 3, v24
	global_load_dwordx2 v[2:3], v[2:3], off offset:2560
	s_waitcnt lgkmcnt(0)
	v_lshrrev_b32_sdwa v24, s48, v36 dst_sel:DWORD dst_unused:UNUSED_PAD src0_sel:DWORD src1_sel:WORD_0
	v_and_b32_e32 v24, s14, v24
	v_lshlrev_b32_e32 v15, 3, v15
	v_lshlrev_b32_e32 v41, 3, v24
	v_lshrrev_b32_sdwa v24, s48, v33 dst_sel:DWORD dst_unused:UNUSED_PAD src0_sel:DWORD src1_sel:WORD_0
	v_and_b32_e32 v26, s14, v24
	ds_read_b64 v[24:25], v15
	v_or_b32_e32 v38, 0x800, v6
	v_mov_b32_e32 v43, s39
	v_lshlrev_b32_e32 v42, 3, v26
	ds_read_b64 v[26:27], v40
	ds_read_b64 v[28:29], v41
	ds_read_b64 v[30:31], v42
	s_waitcnt lgkmcnt(3)
	v_lshlrev_b64 v[24:25], 1, v[24:25]
	v_add_co_u32_e64 v24, s[0:1], s38, v24
	v_addc_co_u32_e64 v25, s[0:1], v43, v25, s[0:1]
	v_lshlrev_b32_e32 v43, 1, v38
	v_add_co_u32_e64 v24, s[0:1], v24, v43
	v_addc_co_u32_e64 v25, s[0:1], 0, v25, s[0:1]
	global_store_short v[24:25], v39, off
	s_waitcnt lgkmcnt(2)
	v_lshlrev_b64 v[24:25], 1, v[26:27]
	v_or_b32_e32 v39, 0xc00, v6
	v_mov_b32_e32 v26, s39
	v_add_co_u32_e64 v24, s[0:1], s38, v24
	v_addc_co_u32_e64 v25, s[0:1], v26, v25, s[0:1]
	v_lshlrev_b32_e32 v26, 1, v39
	v_add_co_u32_e64 v24, s[0:1], v24, v26
	v_xor_b32_e32 v32, -1, v32
	v_addc_co_u32_e64 v25, s[0:1], 0, v25, s[0:1]
	global_store_short v[24:25], v32, off
	s_waitcnt lgkmcnt(1)
	v_lshlrev_b64 v[24:25], 1, v[28:29]
	v_or_b32_e32 v26, 0x1000, v6
	v_mov_b32_e32 v28, s39
	v_add_co_u32_e64 v24, s[0:1], s38, v24
	v_addc_co_u32_e64 v25, s[0:1], v28, v25, s[0:1]
	v_lshlrev_b32_e32 v28, 1, v26
	v_add_co_u32_e64 v24, s[0:1], v24, v28
	v_xor_b32_e32 v27, -1, v36
	;; [unrolled: 11-line block ×3, first 2 shown]
	v_addc_co_u32_e64 v25, s[0:1], 0, v25, s[0:1]
	v_lshlrev_b32_e32 v19, 3, v19
	global_store_short v[24:25], v28, off
	s_barrier
	s_add_i32 s7, s7, -1
	s_cmp_eq_u32 s6, s7
	s_waitcnt vmcnt(9)
	ds_write_b64 v19, v[4:5] offset:2048
	v_lshlrev_b32_e32 v4, 3, v18
	s_waitcnt vmcnt(8)
	ds_write_b64 v4, v[8:9] offset:2048
	v_lshlrev_b32_e32 v4, 3, v17
	;; [unrolled: 3-line block ×5, first 2 shown]
	s_waitcnt vmcnt(4)
	ds_write_b64 v4, v[2:3] offset:2048
	s_waitcnt lgkmcnt(0)
	s_barrier
	ds_read_b64 v[2:3], v34
	v_mov_b32_e32 v5, s43
	v_lshlrev_b32_e32 v4, 3, v6
	ds_read_b64 v[8:9], v35
	ds_read_b64 v[10:11], v15
	;; [unrolled: 1-line block ×3, first 2 shown]
	v_mov_b32_e32 v22, s43
	s_waitcnt lgkmcnt(3)
	v_lshlrev_b64 v[2:3], 3, v[2:3]
	v_add_co_u32_e64 v12, s[0:1], s42, v2
	v_addc_co_u32_e64 v5, s[0:1], v5, v3, s[0:1]
	v_lshlrev_b64 v[2:3], 3, v[6:7]
	v_add_co_u32_e64 v2, s[0:1], v12, v2
	v_addc_co_u32_e64 v3, s[0:1], v5, v3, s[0:1]
	ds_read_b64 v[4:5], v4 offset:2048
	v_mad_u32_u24 v12, v6, 6, v37
	s_waitcnt lgkmcnt(3)
	v_lshlrev_b64 v[8:9], 3, v[8:9]
	ds_read_b64 v[16:17], v41
	ds_read_b64 v[18:19], v12 offset:40960
	ds_read_b64 v[20:21], v42
	v_add_co_u32_e64 v8, s[0:1], s42, v8
	s_waitcnt lgkmcnt(3)
	global_store_dwordx2 v[2:3], v[4:5], off
	ds_read2st64_b64 v[2:5], v12 offset0:16 offset1:32
	v_addc_co_u32_e64 v9, s[0:1], v22, v9, s[0:1]
	v_mov_b32_e32 v22, 0x2000
	v_lshl_or_b32 v22, v6, 3, v22
	v_add_co_u32_e64 v8, s[0:1], v8, v22
	v_addc_co_u32_e64 v9, s[0:1], 0, v9, s[0:1]
	s_waitcnt lgkmcnt(0)
	global_store_dwordx2 v[8:9], v[2:3], off
	v_lshlrev_b64 v[2:3], 3, v[10:11]
	v_mov_b32_e32 v8, s43
	v_add_co_u32_e64 v2, s[0:1], s42, v2
	v_addc_co_u32_e64 v3, s[0:1], v8, v3, s[0:1]
	v_lshlrev_b32_e32 v8, 3, v38
	v_add_co_u32_e64 v2, s[0:1], v2, v8
	v_addc_co_u32_e64 v3, s[0:1], 0, v3, s[0:1]
	global_store_dwordx2 v[2:3], v[4:5], off
	ds_read2st64_b64 v[2:5], v12 offset0:48 offset1:64
	v_lshlrev_b64 v[8:9], 3, v[14:15]
	v_mov_b32_e32 v10, s43
	v_add_co_u32_e64 v8, s[0:1], s42, v8
	v_addc_co_u32_e64 v9, s[0:1], v10, v9, s[0:1]
	v_lshlrev_b32_e32 v10, 3, v39
	v_add_co_u32_e64 v8, s[0:1], v8, v10
	v_addc_co_u32_e64 v9, s[0:1], 0, v9, s[0:1]
	s_waitcnt lgkmcnt(0)
	global_store_dwordx2 v[8:9], v[2:3], off
	v_lshlrev_b64 v[2:3], 3, v[16:17]
	v_mov_b32_e32 v8, s43
	v_add_co_u32_e64 v2, s[0:1], s42, v2
	v_addc_co_u32_e64 v3, s[0:1], v8, v3, s[0:1]
	v_lshlrev_b32_e32 v8, 3, v26
	v_add_co_u32_e64 v2, s[0:1], v2, v8
	v_addc_co_u32_e64 v3, s[0:1], 0, v3, s[0:1]
	global_store_dwordx2 v[2:3], v[4:5], off
	v_lshlrev_b64 v[2:3], 3, v[20:21]
	v_mov_b32_e32 v4, s43
	v_add_co_u32_e64 v2, s[0:1], s42, v2
	v_addc_co_u32_e64 v3, s[0:1], v4, v3, s[0:1]
	v_lshlrev_b32_e32 v4, 3, v27
	v_add_co_u32_e64 v2, s[0:1], v2, v4
	v_addc_co_u32_e64 v3, s[0:1], 0, v3, s[0:1]
	s_cselect_b64 s[0:1], -1, 0
	s_and_b64 s[2:3], vcc, s[0:1]
	global_store_dwordx2 v[2:3], v[18:19], off
                                        ; implicit-def: $vgpr4_vgpr5
	s_and_saveexec_b64 s[0:1], s[2:3]
; %bb.122:
	v_add_co_u32_e32 v4, vcc, v0, v13
	v_addc_co_u32_e32 v5, vcc, 0, v1, vcc
	s_or_b64 s[10:11], s[10:11], exec
; %bb.123:
	s_or_b64 exec, exec, s[0:1]
.LBB14_124:
	s_and_saveexec_b64 s[0:1], s[10:11]
	s_cbranch_execnz .LBB14_126
; %bb.125:
	s_endpgm
.LBB14_126:
	v_lshlrev_b32_e32 v2, 3, v6
	ds_read_b64 v[2:3], v2
	v_lshlrev_b64 v[0:1], 3, v[6:7]
	v_mov_b32_e32 v6, s47
	v_add_co_u32_e32 v0, vcc, s46, v0
	v_addc_co_u32_e32 v1, vcc, v6, v1, vcc
	s_waitcnt lgkmcnt(0)
	v_add_co_u32_e32 v2, vcc, v2, v4
	v_addc_co_u32_e32 v3, vcc, v3, v5, vcc
	global_store_dwordx2 v[0:1], v[2:3], off
	s_endpgm
.LBB14_127:
	global_load_dwordx2 v[4:5], v[18:19], off
	s_or_b64 exec, exec, s[28:29]
                                        ; implicit-def: $vgpr8_vgpr9
	s_and_saveexec_b64 s[28:29], s[0:1]
	s_cbranch_execz .LBB14_59
.LBB14_128:
	global_load_dwordx2 v[8:9], v[18:19], off offset:512
	s_or_b64 exec, exec, s[28:29]
                                        ; implicit-def: $vgpr10_vgpr11
	s_and_saveexec_b64 s[0:1], s[2:3]
	s_cbranch_execz .LBB14_60
.LBB14_129:
	global_load_dwordx2 v[10:11], v[18:19], off offset:1024
	s_or_b64 exec, exec, s[0:1]
                                        ; implicit-def: $vgpr12_vgpr13
	s_and_saveexec_b64 s[0:1], s[26:27]
	s_cbranch_execz .LBB14_61
.LBB14_130:
	global_load_dwordx2 v[12:13], v[18:19], off offset:1536
	s_or_b64 exec, exec, s[0:1]
                                        ; implicit-def: $vgpr14_vgpr15
	s_and_saveexec_b64 s[0:1], s[8:9]
	s_cbranch_execz .LBB14_62
.LBB14_131:
	global_load_dwordx2 v[14:15], v[18:19], off offset:2048
	s_or_b64 exec, exec, s[0:1]
                                        ; implicit-def: $vgpr16_vgpr17
	s_and_saveexec_b64 s[0:1], s[10:11]
	s_cbranch_execnz .LBB14_63
	s_branch .LBB14_64
.LBB14_132:
	v_lshlrev_b32_e32 v5, 3, v35
	ds_read_b64 v[8:9], v5
	ds_read_b64 v[10:11], v4 offset:2048
	v_mov_b32_e32 v5, s43
	s_waitcnt lgkmcnt(1)
	v_lshlrev_b64 v[8:9], 3, v[8:9]
	v_add_co_u32_e32 v8, vcc, s42, v8
	v_addc_co_u32_e32 v5, vcc, v5, v9, vcc
	v_add_co_u32_e32 v8, vcc, v8, v4
	v_addc_co_u32_e32 v9, vcc, 0, v5, vcc
	s_waitcnt lgkmcnt(0)
	global_store_dwordx2 v[8:9], v[10:11], off
	s_or_b64 exec, exec, s[0:1]
	s_and_saveexec_b64 s[0:1], s[16:17]
	s_cbranch_execz .LBB14_78
.LBB14_133:
	v_lshlrev_b32_e32 v5, 3, v33
	ds_read_b64 v[8:9], v5
	ds_read_b64 v[10:11], v4 offset:10240
	v_mov_b32_e32 v5, s43
	s_waitcnt lgkmcnt(1)
	v_lshlrev_b64 v[8:9], 3, v[8:9]
	v_add_co_u32_e32 v8, vcc, s42, v8
	v_addc_co_u32_e32 v5, vcc, v5, v9, vcc
	v_lshlrev_b32_e32 v9, 3, v22
	v_add_co_u32_e32 v8, vcc, v8, v9
	v_addc_co_u32_e32 v9, vcc, 0, v5, vcc
	s_waitcnt lgkmcnt(0)
	global_store_dwordx2 v[8:9], v[10:11], off
	s_or_b64 exec, exec, s[0:1]
	s_and_saveexec_b64 s[0:1], s[18:19]
	s_cbranch_execz .LBB14_79
.LBB14_134:
	v_lshlrev_b32_e32 v5, 3, v34
	ds_read_b64 v[8:9], v5
	ds_read_b64 v[10:11], v4 offset:18432
	v_mov_b32_e32 v5, s43
	s_waitcnt lgkmcnt(1)
	v_lshlrev_b64 v[8:9], 3, v[8:9]
	v_add_co_u32_e32 v8, vcc, s42, v8
	v_addc_co_u32_e32 v5, vcc, v5, v9, vcc
	v_lshlrev_b32_e32 v9, 3, v28
	v_add_co_u32_e32 v8, vcc, v8, v9
	v_addc_co_u32_e32 v9, vcc, 0, v5, vcc
	s_waitcnt lgkmcnt(0)
	global_store_dwordx2 v[8:9], v[10:11], off
	s_or_b64 exec, exec, s[0:1]
	s_and_saveexec_b64 s[0:1], s[20:21]
	s_cbranch_execz .LBB14_80
.LBB14_135:
	v_lshlrev_b32_e32 v5, 3, v18
	ds_read_b64 v[8:9], v5
	ds_read_b64 v[10:11], v4 offset:26624
	v_mov_b32_e32 v5, s43
	s_waitcnt lgkmcnt(1)
	v_lshlrev_b64 v[8:9], 3, v[8:9]
	v_add_co_u32_e32 v8, vcc, s42, v8
	v_addc_co_u32_e32 v5, vcc, v5, v9, vcc
	v_lshlrev_b32_e32 v9, 3, v29
	v_add_co_u32_e32 v8, vcc, v8, v9
	v_addc_co_u32_e32 v9, vcc, 0, v5, vcc
	s_waitcnt lgkmcnt(0)
	global_store_dwordx2 v[8:9], v[10:11], off
	s_or_b64 exec, exec, s[0:1]
	s_and_saveexec_b64 s[0:1], s[22:23]
	s_cbranch_execz .LBB14_81
.LBB14_136:
	v_lshlrev_b32_e32 v5, 3, v19
	ds_read_b64 v[8:9], v5
	ds_read_b64 v[10:11], v4 offset:34816
	v_mov_b32_e32 v5, s43
	s_waitcnt lgkmcnt(1)
	v_lshlrev_b64 v[8:9], 3, v[8:9]
	v_add_co_u32_e32 v8, vcc, s42, v8
	v_addc_co_u32_e32 v5, vcc, v5, v9, vcc
	v_lshlrev_b32_e32 v9, 3, v30
	v_add_co_u32_e32 v8, vcc, v8, v9
	v_addc_co_u32_e32 v9, vcc, 0, v5, vcc
	s_waitcnt lgkmcnt(0)
	global_store_dwordx2 v[8:9], v[10:11], off
	s_or_b64 exec, exec, s[0:1]
	s_and_saveexec_b64 s[0:1], s[24:25]
	s_cbranch_execnz .LBB14_82
	s_branch .LBB14_83
	.section	.rodata,"a",@progbits
	.p2align	6, 0x0
	.amdhsa_kernel _ZN7rocprim17ROCPRIM_304000_NS6detail25onesweep_iteration_kernelINS1_34wrapped_radix_sort_onesweep_configINS0_14default_configEtN2at4cuda3cub6detail10OpaqueTypeILi8EEEEELb1EPKtPtPKSA_PSA_mNS0_19identity_decomposerEEEvT1_T2_T3_T4_jPT5_SO_PNS1_23onesweep_lookback_stateET6_jjj
		.amdhsa_group_segment_fixed_size 51200
		.amdhsa_private_segment_fixed_size 0
		.amdhsa_kernarg_size 336
		.amdhsa_user_sgpr_count 6
		.amdhsa_user_sgpr_private_segment_buffer 1
		.amdhsa_user_sgpr_dispatch_ptr 0
		.amdhsa_user_sgpr_queue_ptr 0
		.amdhsa_user_sgpr_kernarg_segment_ptr 1
		.amdhsa_user_sgpr_dispatch_id 0
		.amdhsa_user_sgpr_flat_scratch_init 0
		.amdhsa_user_sgpr_kernarg_preload_length 0
		.amdhsa_user_sgpr_kernarg_preload_offset 0
		.amdhsa_user_sgpr_private_segment_size 0
		.amdhsa_uses_dynamic_stack 0
		.amdhsa_system_sgpr_private_segment_wavefront_offset 0
		.amdhsa_system_sgpr_workgroup_id_x 1
		.amdhsa_system_sgpr_workgroup_id_y 0
		.amdhsa_system_sgpr_workgroup_id_z 0
		.amdhsa_system_sgpr_workgroup_info 0
		.amdhsa_system_vgpr_workitem_id 2
		.amdhsa_next_free_vgpr 44
		.amdhsa_next_free_sgpr 52
		.amdhsa_accum_offset 44
		.amdhsa_reserve_vcc 1
		.amdhsa_reserve_flat_scratch 0
		.amdhsa_float_round_mode_32 0
		.amdhsa_float_round_mode_16_64 0
		.amdhsa_float_denorm_mode_32 3
		.amdhsa_float_denorm_mode_16_64 3
		.amdhsa_dx10_clamp 1
		.amdhsa_ieee_mode 1
		.amdhsa_fp16_overflow 0
		.amdhsa_tg_split 0
		.amdhsa_exception_fp_ieee_invalid_op 0
		.amdhsa_exception_fp_denorm_src 0
		.amdhsa_exception_fp_ieee_div_zero 0
		.amdhsa_exception_fp_ieee_overflow 0
		.amdhsa_exception_fp_ieee_underflow 0
		.amdhsa_exception_fp_ieee_inexact 0
		.amdhsa_exception_int_div_zero 0
	.end_amdhsa_kernel
	.section	.text._ZN7rocprim17ROCPRIM_304000_NS6detail25onesweep_iteration_kernelINS1_34wrapped_radix_sort_onesweep_configINS0_14default_configEtN2at4cuda3cub6detail10OpaqueTypeILi8EEEEELb1EPKtPtPKSA_PSA_mNS0_19identity_decomposerEEEvT1_T2_T3_T4_jPT5_SO_PNS1_23onesweep_lookback_stateET6_jjj,"axG",@progbits,_ZN7rocprim17ROCPRIM_304000_NS6detail25onesweep_iteration_kernelINS1_34wrapped_radix_sort_onesweep_configINS0_14default_configEtN2at4cuda3cub6detail10OpaqueTypeILi8EEEEELb1EPKtPtPKSA_PSA_mNS0_19identity_decomposerEEEvT1_T2_T3_T4_jPT5_SO_PNS1_23onesweep_lookback_stateET6_jjj,comdat
.Lfunc_end14:
	.size	_ZN7rocprim17ROCPRIM_304000_NS6detail25onesweep_iteration_kernelINS1_34wrapped_radix_sort_onesweep_configINS0_14default_configEtN2at4cuda3cub6detail10OpaqueTypeILi8EEEEELb1EPKtPtPKSA_PSA_mNS0_19identity_decomposerEEEvT1_T2_T3_T4_jPT5_SO_PNS1_23onesweep_lookback_stateET6_jjj, .Lfunc_end14-_ZN7rocprim17ROCPRIM_304000_NS6detail25onesweep_iteration_kernelINS1_34wrapped_radix_sort_onesweep_configINS0_14default_configEtN2at4cuda3cub6detail10OpaqueTypeILi8EEEEELb1EPKtPtPKSA_PSA_mNS0_19identity_decomposerEEEvT1_T2_T3_T4_jPT5_SO_PNS1_23onesweep_lookback_stateET6_jjj
                                        ; -- End function
	.section	.AMDGPU.csdata,"",@progbits
; Kernel info:
; codeLenInByte = 11520
; NumSgprs: 56
; NumVgprs: 44
; NumAgprs: 0
; TotalNumVgprs: 44
; ScratchSize: 0
; MemoryBound: 0
; FloatMode: 240
; IeeeMode: 1
; LDSByteSize: 51200 bytes/workgroup (compile time only)
; SGPRBlocks: 6
; VGPRBlocks: 5
; NumSGPRsForWavesPerEU: 56
; NumVGPRsForWavesPerEU: 44
; AccumOffset: 44
; Occupancy: 4
; WaveLimiterHint : 1
; COMPUTE_PGM_RSRC2:SCRATCH_EN: 0
; COMPUTE_PGM_RSRC2:USER_SGPR: 6
; COMPUTE_PGM_RSRC2:TRAP_HANDLER: 0
; COMPUTE_PGM_RSRC2:TGID_X_EN: 1
; COMPUTE_PGM_RSRC2:TGID_Y_EN: 0
; COMPUTE_PGM_RSRC2:TGID_Z_EN: 0
; COMPUTE_PGM_RSRC2:TIDIG_COMP_CNT: 2
; COMPUTE_PGM_RSRC3_GFX90A:ACCUM_OFFSET: 10
; COMPUTE_PGM_RSRC3_GFX90A:TG_SPLIT: 0
	.section	.text._ZN7rocprim17ROCPRIM_304000_NS6detail25onesweep_iteration_kernelINS1_34wrapped_radix_sort_onesweep_configINS0_14default_configEtN2at4cuda3cub6detail10OpaqueTypeILi8EEEEELb1EPtSC_PSA_SD_mNS0_19identity_decomposerEEEvT1_T2_T3_T4_jPT5_SK_PNS1_23onesweep_lookback_stateET6_jjj,"axG",@progbits,_ZN7rocprim17ROCPRIM_304000_NS6detail25onesweep_iteration_kernelINS1_34wrapped_radix_sort_onesweep_configINS0_14default_configEtN2at4cuda3cub6detail10OpaqueTypeILi8EEEEELb1EPtSC_PSA_SD_mNS0_19identity_decomposerEEEvT1_T2_T3_T4_jPT5_SK_PNS1_23onesweep_lookback_stateET6_jjj,comdat
	.protected	_ZN7rocprim17ROCPRIM_304000_NS6detail25onesweep_iteration_kernelINS1_34wrapped_radix_sort_onesweep_configINS0_14default_configEtN2at4cuda3cub6detail10OpaqueTypeILi8EEEEELb1EPtSC_PSA_SD_mNS0_19identity_decomposerEEEvT1_T2_T3_T4_jPT5_SK_PNS1_23onesweep_lookback_stateET6_jjj ; -- Begin function _ZN7rocprim17ROCPRIM_304000_NS6detail25onesweep_iteration_kernelINS1_34wrapped_radix_sort_onesweep_configINS0_14default_configEtN2at4cuda3cub6detail10OpaqueTypeILi8EEEEELb1EPtSC_PSA_SD_mNS0_19identity_decomposerEEEvT1_T2_T3_T4_jPT5_SK_PNS1_23onesweep_lookback_stateET6_jjj
	.globl	_ZN7rocprim17ROCPRIM_304000_NS6detail25onesweep_iteration_kernelINS1_34wrapped_radix_sort_onesweep_configINS0_14default_configEtN2at4cuda3cub6detail10OpaqueTypeILi8EEEEELb1EPtSC_PSA_SD_mNS0_19identity_decomposerEEEvT1_T2_T3_T4_jPT5_SK_PNS1_23onesweep_lookback_stateET6_jjj
	.p2align	8
	.type	_ZN7rocprim17ROCPRIM_304000_NS6detail25onesweep_iteration_kernelINS1_34wrapped_radix_sort_onesweep_configINS0_14default_configEtN2at4cuda3cub6detail10OpaqueTypeILi8EEEEELb1EPtSC_PSA_SD_mNS0_19identity_decomposerEEEvT1_T2_T3_T4_jPT5_SK_PNS1_23onesweep_lookback_stateET6_jjj,@function
_ZN7rocprim17ROCPRIM_304000_NS6detail25onesweep_iteration_kernelINS1_34wrapped_radix_sort_onesweep_configINS0_14default_configEtN2at4cuda3cub6detail10OpaqueTypeILi8EEEEELb1EPtSC_PSA_SD_mNS0_19identity_decomposerEEEvT1_T2_T3_T4_jPT5_SK_PNS1_23onesweep_lookback_stateET6_jjj: ; @_ZN7rocprim17ROCPRIM_304000_NS6detail25onesweep_iteration_kernelINS1_34wrapped_radix_sort_onesweep_configINS0_14default_configEtN2at4cuda3cub6detail10OpaqueTypeILi8EEEEELb1EPtSC_PSA_SD_mNS0_19identity_decomposerEEEvT1_T2_T3_T4_jPT5_SK_PNS1_23onesweep_lookback_stateET6_jjj
; %bb.0:
	s_load_dwordx4 s[48:51], s[4:5], 0x44
	s_load_dwordx8 s[36:43], s[4:5], 0x0
	s_load_dwordx4 s[44:47], s[4:5], 0x28
	s_load_dwordx2 s[34:35], s[4:5], 0x38
	s_mul_i32 s30, s6, 0x1800
	s_waitcnt lgkmcnt(0)
	s_cmp_ge_u32 s6, s50
	v_mbcnt_lo_u32_b32 v1, -1, 0
	s_cbranch_scc0 .LBB15_86
; %bb.1:
	s_load_dword s2, s[4:5], 0x20
	s_mulk_i32 s50, 0xe800
	s_mov_b32 s31, 0
	v_and_b32_e32 v6, 0x3ff, v0
	s_lshl_b64 s[0:1], s[30:31], 1
	s_waitcnt lgkmcnt(0)
	s_add_i32 s50, s50, s2
	s_add_u32 s0, s36, s0
	v_mbcnt_hi_u32_b32 v12, -1, v1
	v_and_b32_e32 v2, 0x3c0, v6
	s_addc_u32 s1, s37, s1
	v_mul_u32_u24_e32 v7, 6, v2
	v_lshlrev_b32_e32 v2, 1, v12
	v_mov_b32_e32 v3, s1
	v_add_co_u32_e32 v2, vcc, s0, v2
	v_addc_co_u32_e32 v3, vcc, 0, v3, vcc
	v_lshlrev_b32_e32 v4, 1, v7
	v_add_co_u32_e32 v8, vcc, v2, v4
	s_mov_b32 s2, s31
	v_addc_co_u32_e32 v9, vcc, 0, v3, vcc
	v_or_b32_e32 v10, v12, v7
	s_mov_b32 s0, s31
	s_mov_b32 s1, s31
	v_pk_mov_b32 v[4:5], s[2:3], s[2:3] op_sel:[0,1]
	v_cmp_gt_u32_e32 vcc, s50, v10
	v_pk_mov_b32 v[2:3], s[0:1], s[0:1] op_sel:[0,1]
	s_and_saveexec_b64 s[0:1], vcc
	s_cbranch_execz .LBB15_3
; %bb.2:
	global_load_ushort v2, v[8:9], off
	v_mov_b32_e32 v3, 0
	v_mov_b32_e32 v4, v3
	s_waitcnt vmcnt(0)
	v_and_b32_e32 v2, 0xffff, v2
.LBB15_3:
	s_or_b64 exec, exec, s[0:1]
	v_add_u32_e32 v5, 64, v10
	v_cmp_gt_u32_e64 s[0:1], s50, v5
	s_and_saveexec_b64 s[2:3], s[0:1]
	s_cbranch_execz .LBB15_5
; %bb.4:
	global_load_ushort v5, v[8:9], off offset:128
	s_mov_b32 s7, 0x5040100
	s_waitcnt vmcnt(0)
	v_perm_b32 v2, v5, v2, s7
.LBB15_5:
	s_or_b64 exec, exec, s[2:3]
	v_add_u32_e32 v5, 0x80, v10
	v_cmp_gt_u32_e64 s[2:3], s50, v5
	s_and_saveexec_b64 s[8:9], s[2:3]
	s_cbranch_execz .LBB15_7
; %bb.6:
	global_load_ushort v5, v[8:9], off offset:256
	s_mov_b32 s7, 0xffff
	s_waitcnt vmcnt(0)
	v_bfi_b32 v3, s7, v5, v3
.LBB15_7:
	s_or_b64 exec, exec, s[8:9]
	v_add_u32_e32 v5, 0xc0, v10
	v_cmp_gt_u32_e64 s[26:27], s50, v5
	s_and_saveexec_b64 s[8:9], s[26:27]
	s_cbranch_execz .LBB15_9
; %bb.8:
	global_load_ushort v5, v[8:9], off offset:384
	s_mov_b32 s7, 0x5040100
	s_waitcnt vmcnt(0)
	v_perm_b32 v3, v5, v3, s7
.LBB15_9:
	s_or_b64 exec, exec, s[8:9]
	v_add_u32_e32 v5, 0x100, v10
	v_cmp_gt_u32_e64 s[8:9], s50, v5
	s_and_saveexec_b64 s[10:11], s[8:9]
	s_cbranch_execz .LBB15_11
; %bb.10:
	global_load_ushort v5, v[8:9], off offset:512
	s_mov_b32 s7, 0xffff
	s_waitcnt vmcnt(0)
	v_bfi_b32 v4, s7, v5, v4
.LBB15_11:
	s_or_b64 exec, exec, s[10:11]
	v_add_u32_e32 v5, 0x140, v10
	v_cmp_gt_u32_e64 s[10:11], s50, v5
	s_and_saveexec_b64 s[12:13], s[10:11]
	s_cbranch_execz .LBB15_13
; %bb.12:
	global_load_ushort v5, v[8:9], off offset:640
	s_mov_b32 s7, 0x5040100
	s_waitcnt vmcnt(0)
	v_perm_b32 v4, v5, v4, s7
.LBB15_13:
	s_or_b64 exec, exec, s[12:13]
	s_load_dword s12, s[4:5], 0x5c
	s_load_dword s7, s[4:5], 0x50
	s_add_u32 s13, s4, 0x50
	s_addc_u32 s14, s5, 0
	v_mov_b32_e32 v8, 0
	s_waitcnt lgkmcnt(0)
	s_lshr_b32 s15, s12, 16
	s_cmp_lt_u32 s6, s7
	s_cselect_b32 s12, 12, 18
	s_add_u32 s12, s13, s12
	s_addc_u32 s13, s14, 0
	global_load_ushort v5, v8, s[12:13]
	v_xor_b32_e32 v13, -1, v2
	v_mul_u32_u24_e32 v11, 5, v6
	s_lshl_b32 s12, -1, s49
	v_lshlrev_b32_e32 v14, 2, v11
	v_lshrrev_b32_sdwa v11, s48, v13 dst_sel:DWORD dst_unused:UNUSED_PAD src0_sel:DWORD src1_sel:WORD_0
	s_not_b32 s33, s12
	v_and_b32_e32 v11, s33, v11
	v_and_b32_e32 v16, 1, v11
	v_bfe_u32 v9, v0, 10, 10
	v_bfe_u32 v10, v0, 20, 10
	v_add_co_u32_e64 v17, s[12:13], -1, v16
	v_mad_u32_u24 v10, v10, s15, v9
	v_lshlrev_b32_e32 v9, 30, v11
	v_addc_co_u32_e64 v18, s[12:13], 0, -1, s[12:13]
	v_cmp_ne_u32_e64 s[12:13], 0, v16
	v_cmp_gt_i64_e64 s[14:15], 0, v[8:9]
	v_not_b32_e32 v16, v9
	v_lshlrev_b32_e32 v9, 29, v11
	v_xor_b32_e32 v18, s13, v18
	v_xor_b32_e32 v17, s12, v17
	v_ashrrev_i32_e32 v16, 31, v16
	v_cmp_gt_i64_e64 s[12:13], 0, v[8:9]
	v_not_b32_e32 v19, v9
	v_lshlrev_b32_e32 v9, 28, v11
	v_and_b32_e32 v18, exec_hi, v18
	v_and_b32_e32 v17, exec_lo, v17
	v_xor_b32_e32 v20, s15, v16
	v_xor_b32_e32 v16, s14, v16
	v_ashrrev_i32_e32 v19, 31, v19
	v_cmp_gt_i64_e64 s[14:15], 0, v[8:9]
	v_not_b32_e32 v21, v9
	v_lshlrev_b32_e32 v9, 27, v11
	v_and_b32_e32 v18, v18, v20
	v_and_b32_e32 v16, v17, v16
	v_xor_b32_e32 v17, s13, v19
	v_xor_b32_e32 v19, s12, v19
	v_ashrrev_i32_e32 v20, 31, v21
	v_cmp_gt_i64_e64 s[12:13], 0, v[8:9]
	v_not_b32_e32 v21, v9
	v_lshlrev_b32_e32 v9, 26, v11
	v_and_b32_e32 v17, v18, v17
	v_and_b32_e32 v16, v16, v19
	;; [unrolled: 8-line block ×3, first 2 shown]
	v_xor_b32_e32 v18, s13, v20
	v_xor_b32_e32 v19, s12, v20
	v_ashrrev_i32_e32 v20, 31, v21
	v_not_b32_e32 v21, v9
	v_mul_u32_u24_e32 v15, 17, v11
	v_cmp_gt_i64_e64 s[12:13], 0, v[8:9]
	v_lshlrev_b32_e32 v9, 24, v11
	v_and_b32_e32 v11, v17, v18
	v_and_b32_e32 v16, v16, v19
	v_xor_b32_e32 v17, s15, v20
	v_ashrrev_i32_e32 v19, 31, v21
	v_xor_b32_e32 v18, s14, v20
	v_cmp_gt_i64_e64 s[14:15], 0, v[8:9]
	v_not_b32_e32 v9, v9
	v_and_b32_e32 v11, v11, v17
	v_xor_b32_e32 v17, s13, v19
	v_and_b32_e32 v16, v16, v18
	v_xor_b32_e32 v18, s12, v19
	v_and_b32_e32 v17, v11, v17
	v_ashrrev_i32_e32 v9, 31, v9
	v_and_b32_e32 v16, v16, v18
	ds_write2_b32 v14, v8, v8 offset0:16 offset1:17
	ds_write2_b32 v14, v8, v8 offset0:18 offset1:19
	ds_write_b32 v14, v8 offset:80
	s_waitcnt lgkmcnt(0)
	s_barrier
	s_waitcnt lgkmcnt(0)
	; wave barrier
	s_waitcnt vmcnt(0)
	v_mad_u64_u32 v[10:11], s[12:13], v10, v5, v[6:7]
	v_lshrrev_b32_e32 v5, 6, v10
	v_xor_b32_e32 v10, s15, v9
	v_xor_b32_e32 v9, s14, v9
	v_and_b32_e32 v11, v17, v10
	v_and_b32_e32 v10, v16, v9
	v_mbcnt_lo_u32_b32 v9, v10, 0
	v_add_lshl_u32 v18, v5, v15, 2
	v_mbcnt_hi_u32_b32 v15, v11, v9
	v_cmp_eq_u32_e64 s[12:13], 0, v15
	v_cmp_ne_u64_e64 s[14:15], 0, v[10:11]
	s_and_b64 s[14:15], s[14:15], s[12:13]
	s_and_saveexec_b64 s[12:13], s[14:15]
	s_cbranch_execz .LBB15_15
; %bb.14:
	v_bcnt_u32_b32 v9, v10, 0
	v_bcnt_u32_b32 v9, v11, v9
	ds_write_b32 v18, v9 offset:64
.LBB15_15:
	s_or_b64 exec, exec, s[12:13]
	v_mov_b32_e32 v9, -1
	v_xor_b32_sdwa v16, v2, v9 dst_sel:DWORD dst_unused:UNUSED_PAD src0_sel:WORD_1 src1_sel:DWORD
	v_lshrrev_b32_sdwa v2, s48, v16 dst_sel:DWORD dst_unused:UNUSED_PAD src0_sel:DWORD src1_sel:WORD_0
	v_and_b32_e32 v2, s33, v2
	v_mul_u32_u24_e32 v9, 17, v2
	v_add_lshl_u32 v19, v5, v9, 2
	v_and_b32_e32 v9, 1, v2
	v_add_co_u32_e64 v10, s[12:13], -1, v9
	v_addc_co_u32_e64 v11, s[12:13], 0, -1, s[12:13]
	v_cmp_ne_u32_e64 s[12:13], 0, v9
	v_xor_b32_e32 v9, s13, v11
	v_and_b32_e32 v11, exec_hi, v9
	v_lshlrev_b32_e32 v9, 30, v2
	v_xor_b32_e32 v10, s12, v10
	v_cmp_gt_i64_e64 s[12:13], 0, v[8:9]
	v_not_b32_e32 v9, v9
	v_ashrrev_i32_e32 v9, 31, v9
	v_and_b32_e32 v10, exec_lo, v10
	v_xor_b32_e32 v20, s13, v9
	v_xor_b32_e32 v9, s12, v9
	v_and_b32_e32 v10, v10, v9
	v_lshlrev_b32_e32 v9, 29, v2
	v_cmp_gt_i64_e64 s[12:13], 0, v[8:9]
	v_not_b32_e32 v9, v9
	v_ashrrev_i32_e32 v9, 31, v9
	v_and_b32_e32 v11, v11, v20
	v_xor_b32_e32 v20, s13, v9
	v_xor_b32_e32 v9, s12, v9
	v_and_b32_e32 v10, v10, v9
	v_lshlrev_b32_e32 v9, 28, v2
	v_cmp_gt_i64_e64 s[12:13], 0, v[8:9]
	v_not_b32_e32 v9, v9
	v_ashrrev_i32_e32 v9, 31, v9
	v_and_b32_e32 v11, v11, v20
	;; [unrolled: 8-line block ×5, first 2 shown]
	v_xor_b32_e32 v20, s13, v9
	v_xor_b32_e32 v9, s12, v9
	v_and_b32_e32 v10, v10, v9
	v_lshlrev_b32_e32 v9, 24, v2
	v_not_b32_e32 v2, v9
	v_cmp_gt_i64_e64 s[12:13], 0, v[8:9]
	v_ashrrev_i32_e32 v2, 31, v2
	v_and_b32_e32 v11, v11, v20
	v_xor_b32_e32 v8, s13, v2
	v_xor_b32_e32 v2, s12, v2
	; wave barrier
	ds_read_b32 v17, v19 offset:64
	v_and_b32_e32 v9, v11, v8
	v_and_b32_e32 v8, v10, v2
	v_mbcnt_lo_u32_b32 v2, v8, 0
	v_mbcnt_hi_u32_b32 v21, v9, v2
	v_cmp_eq_u32_e64 s[12:13], 0, v21
	v_cmp_ne_u64_e64 s[14:15], 0, v[8:9]
	s_and_b64 s[14:15], s[14:15], s[12:13]
	; wave barrier
	s_and_saveexec_b64 s[12:13], s[14:15]
	s_cbranch_execz .LBB15_17
; %bb.16:
	v_bcnt_u32_b32 v2, v8, 0
	v_bcnt_u32_b32 v2, v9, v2
	s_waitcnt lgkmcnt(0)
	v_add_u32_e32 v2, v17, v2
	ds_write_b32 v19, v2 offset:64
.LBB15_17:
	s_or_b64 exec, exec, s[12:13]
	v_xor_b32_e32 v22, -1, v3
	v_lshrrev_b32_sdwa v2, s48, v22 dst_sel:DWORD dst_unused:UNUSED_PAD src0_sel:DWORD src1_sel:WORD_0
	v_and_b32_e32 v2, s33, v2
	v_and_b32_e32 v9, 1, v2
	v_add_co_u32_e64 v10, s[12:13], -1, v9
	v_addc_co_u32_e64 v11, s[12:13], 0, -1, s[12:13]
	v_cmp_ne_u32_e64 s[12:13], 0, v9
	v_mul_u32_u24_e32 v8, 17, v2
	v_xor_b32_e32 v9, s13, v11
	v_add_lshl_u32 v20, v5, v8, 2
	v_mov_b32_e32 v8, 0
	v_and_b32_e32 v11, exec_hi, v9
	v_lshlrev_b32_e32 v9, 30, v2
	v_xor_b32_e32 v10, s12, v10
	v_cmp_gt_i64_e64 s[12:13], 0, v[8:9]
	v_not_b32_e32 v9, v9
	v_ashrrev_i32_e32 v9, 31, v9
	v_and_b32_e32 v10, exec_lo, v10
	v_xor_b32_e32 v24, s13, v9
	v_xor_b32_e32 v9, s12, v9
	v_and_b32_e32 v10, v10, v9
	v_lshlrev_b32_e32 v9, 29, v2
	v_cmp_gt_i64_e64 s[12:13], 0, v[8:9]
	v_not_b32_e32 v9, v9
	v_ashrrev_i32_e32 v9, 31, v9
	v_and_b32_e32 v11, v11, v24
	v_xor_b32_e32 v24, s13, v9
	v_xor_b32_e32 v9, s12, v9
	v_and_b32_e32 v10, v10, v9
	v_lshlrev_b32_e32 v9, 28, v2
	v_cmp_gt_i64_e64 s[12:13], 0, v[8:9]
	v_not_b32_e32 v9, v9
	v_ashrrev_i32_e32 v9, 31, v9
	v_and_b32_e32 v11, v11, v24
	;; [unrolled: 8-line block ×5, first 2 shown]
	v_xor_b32_e32 v24, s13, v9
	v_xor_b32_e32 v9, s12, v9
	v_and_b32_e32 v10, v10, v9
	v_lshlrev_b32_e32 v9, 24, v2
	v_not_b32_e32 v2, v9
	v_cmp_gt_i64_e64 s[12:13], 0, v[8:9]
	v_ashrrev_i32_e32 v2, 31, v2
	v_xor_b32_e32 v9, s13, v2
	v_xor_b32_e32 v2, s12, v2
	; wave barrier
	ds_read_b32 v23, v20 offset:64
	v_and_b32_e32 v11, v11, v24
	v_and_b32_e32 v10, v10, v2
	;; [unrolled: 1-line block ×3, first 2 shown]
	v_mbcnt_lo_u32_b32 v2, v10, 0
	v_mbcnt_hi_u32_b32 v24, v11, v2
	v_cmp_eq_u32_e64 s[12:13], 0, v24
	v_cmp_ne_u64_e64 s[14:15], 0, v[10:11]
	s_and_b64 s[14:15], s[14:15], s[12:13]
	; wave barrier
	s_and_saveexec_b64 s[12:13], s[14:15]
	s_cbranch_execz .LBB15_19
; %bb.18:
	v_bcnt_u32_b32 v2, v10, 0
	v_bcnt_u32_b32 v2, v11, v2
	s_waitcnt lgkmcnt(0)
	v_add_u32_e32 v2, v23, v2
	ds_write_b32 v20, v2 offset:64
.LBB15_19:
	s_or_b64 exec, exec, s[12:13]
	v_mov_b32_e32 v2, -1
	v_xor_b32_sdwa v10, v3, v2 dst_sel:DWORD dst_unused:UNUSED_PAD src0_sel:WORD_1 src1_sel:DWORD
	v_lshrrev_b32_sdwa v2, s48, v10 dst_sel:DWORD dst_unused:UNUSED_PAD src0_sel:DWORD src1_sel:WORD_0
	v_and_b32_e32 v2, s33, v2
	v_mul_u32_u24_e32 v3, 17, v2
	v_add_lshl_u32 v25, v5, v3, 2
	v_and_b32_e32 v3, 1, v2
	v_add_co_u32_e64 v9, s[12:13], -1, v3
	v_addc_co_u32_e64 v26, s[12:13], 0, -1, s[12:13]
	v_cmp_ne_u32_e64 s[12:13], 0, v3
	v_xor_b32_e32 v9, s12, v9
	v_xor_b32_e32 v3, s13, v26
	v_and_b32_e32 v26, exec_lo, v9
	v_lshlrev_b32_e32 v9, 30, v2
	v_cmp_gt_i64_e64 s[12:13], 0, v[8:9]
	v_not_b32_e32 v9, v9
	v_ashrrev_i32_e32 v9, 31, v9
	v_xor_b32_e32 v27, s13, v9
	v_xor_b32_e32 v9, s12, v9
	v_and_b32_e32 v26, v26, v9
	v_lshlrev_b32_e32 v9, 29, v2
	v_cmp_gt_i64_e64 s[12:13], 0, v[8:9]
	v_not_b32_e32 v9, v9
	v_and_b32_e32 v3, exec_hi, v3
	v_ashrrev_i32_e32 v9, 31, v9
	v_and_b32_e32 v3, v3, v27
	v_xor_b32_e32 v27, s13, v9
	v_xor_b32_e32 v9, s12, v9
	v_and_b32_e32 v26, v26, v9
	v_lshlrev_b32_e32 v9, 28, v2
	v_cmp_gt_i64_e64 s[12:13], 0, v[8:9]
	v_not_b32_e32 v9, v9
	v_ashrrev_i32_e32 v9, 31, v9
	v_and_b32_e32 v3, v3, v27
	v_xor_b32_e32 v27, s13, v9
	v_xor_b32_e32 v9, s12, v9
	v_and_b32_e32 v26, v26, v9
	v_lshlrev_b32_e32 v9, 27, v2
	v_cmp_gt_i64_e64 s[12:13], 0, v[8:9]
	v_not_b32_e32 v9, v9
	;; [unrolled: 8-line block ×4, first 2 shown]
	v_ashrrev_i32_e32 v9, 31, v9
	v_and_b32_e32 v3, v3, v27
	v_xor_b32_e32 v27, s13, v9
	v_xor_b32_e32 v9, s12, v9
	v_and_b32_e32 v26, v26, v9
	v_lshlrev_b32_e32 v9, 24, v2
	v_not_b32_e32 v2, v9
	v_cmp_gt_i64_e64 s[12:13], 0, v[8:9]
	v_ashrrev_i32_e32 v2, 31, v2
	v_xor_b32_e32 v8, s13, v2
	v_xor_b32_e32 v2, s12, v2
	; wave barrier
	ds_read_b32 v11, v25 offset:64
	v_and_b32_e32 v3, v3, v27
	v_and_b32_e32 v2, v26, v2
	;; [unrolled: 1-line block ×3, first 2 shown]
	v_mbcnt_lo_u32_b32 v8, v2, 0
	v_mbcnt_hi_u32_b32 v28, v3, v8
	v_cmp_eq_u32_e64 s[12:13], 0, v28
	v_cmp_ne_u64_e64 s[14:15], 0, v[2:3]
	s_and_b64 s[14:15], s[14:15], s[12:13]
	; wave barrier
	s_and_saveexec_b64 s[12:13], s[14:15]
	s_cbranch_execz .LBB15_21
; %bb.20:
	v_bcnt_u32_b32 v2, v2, 0
	v_bcnt_u32_b32 v2, v3, v2
	s_waitcnt lgkmcnt(0)
	v_add_u32_e32 v2, v11, v2
	ds_write_b32 v25, v2 offset:64
.LBB15_21:
	s_or_b64 exec, exec, s[12:13]
	v_xor_b32_e32 v29, -1, v4
	v_lshrrev_b32_sdwa v2, s48, v29 dst_sel:DWORD dst_unused:UNUSED_PAD src0_sel:DWORD src1_sel:WORD_0
	v_and_b32_e32 v8, s33, v2
	v_and_b32_e32 v3, 1, v8
	v_add_co_u32_e64 v9, s[12:13], -1, v3
	v_addc_co_u32_e64 v27, s[12:13], 0, -1, s[12:13]
	v_cmp_ne_u32_e64 s[12:13], 0, v3
	v_mul_u32_u24_e32 v2, 17, v8
	v_xor_b32_e32 v3, s13, v27
	v_add_lshl_u32 v26, v5, v2, 2
	v_mov_b32_e32 v2, 0
	v_and_b32_e32 v27, exec_hi, v3
	v_lshlrev_b32_e32 v3, 30, v8
	v_xor_b32_e32 v9, s12, v9
	v_cmp_gt_i64_e64 s[12:13], 0, v[2:3]
	v_not_b32_e32 v3, v3
	v_ashrrev_i32_e32 v3, 31, v3
	v_and_b32_e32 v9, exec_lo, v9
	v_xor_b32_e32 v31, s13, v3
	v_xor_b32_e32 v3, s12, v3
	v_and_b32_e32 v9, v9, v3
	v_lshlrev_b32_e32 v3, 29, v8
	v_cmp_gt_i64_e64 s[12:13], 0, v[2:3]
	v_not_b32_e32 v3, v3
	v_ashrrev_i32_e32 v3, 31, v3
	v_and_b32_e32 v27, v27, v31
	v_xor_b32_e32 v31, s13, v3
	v_xor_b32_e32 v3, s12, v3
	v_and_b32_e32 v9, v9, v3
	v_lshlrev_b32_e32 v3, 28, v8
	v_cmp_gt_i64_e64 s[12:13], 0, v[2:3]
	v_not_b32_e32 v3, v3
	v_ashrrev_i32_e32 v3, 31, v3
	v_and_b32_e32 v27, v27, v31
	;; [unrolled: 8-line block ×5, first 2 shown]
	v_xor_b32_e32 v31, s13, v3
	v_xor_b32_e32 v3, s12, v3
	v_and_b32_e32 v27, v27, v31
	v_and_b32_e32 v31, v9, v3
	v_lshlrev_b32_e32 v3, 24, v8
	v_cmp_gt_i64_e64 s[12:13], 0, v[2:3]
	v_not_b32_e32 v3, v3
	v_ashrrev_i32_e32 v3, 31, v3
	v_xor_b32_e32 v8, s13, v3
	v_xor_b32_e32 v3, s12, v3
	; wave barrier
	ds_read_b32 v30, v26 offset:64
	v_and_b32_e32 v9, v27, v8
	v_and_b32_e32 v8, v31, v3
	v_mbcnt_lo_u32_b32 v3, v8, 0
	v_mbcnt_hi_u32_b32 v31, v9, v3
	v_cmp_eq_u32_e64 s[12:13], 0, v31
	v_cmp_ne_u64_e64 s[14:15], 0, v[8:9]
	s_and_b64 s[14:15], s[14:15], s[12:13]
	; wave barrier
	s_and_saveexec_b64 s[12:13], s[14:15]
	s_cbranch_execz .LBB15_23
; %bb.22:
	v_bcnt_u32_b32 v3, v8, 0
	v_bcnt_u32_b32 v3, v9, v3
	s_waitcnt lgkmcnt(0)
	v_add_u32_e32 v3, v30, v3
	ds_write_b32 v26, v3 offset:64
.LBB15_23:
	s_or_b64 exec, exec, s[12:13]
	v_mov_b32_e32 v3, -1
	v_xor_b32_sdwa v8, v4, v3 dst_sel:DWORD dst_unused:UNUSED_PAD src0_sel:WORD_1 src1_sel:DWORD
	v_lshrrev_b32_sdwa v3, s48, v8 dst_sel:DWORD dst_unused:UNUSED_PAD src0_sel:DWORD src1_sel:WORD_0
	v_and_b32_e32 v4, s33, v3
	v_mul_u32_u24_e32 v3, 17, v4
	v_add_lshl_u32 v32, v5, v3, 2
	v_and_b32_e32 v3, 1, v4
	v_add_co_u32_e64 v5, s[12:13], -1, v3
	v_addc_co_u32_e64 v33, s[12:13], 0, -1, s[12:13]
	v_cmp_ne_u32_e64 s[12:13], 0, v3
	v_xor_b32_e32 v3, s13, v33
	v_and_b32_e32 v33, exec_hi, v3
	v_lshlrev_b32_e32 v3, 30, v4
	v_xor_b32_e32 v5, s12, v5
	v_cmp_gt_i64_e64 s[12:13], 0, v[2:3]
	v_not_b32_e32 v3, v3
	v_ashrrev_i32_e32 v3, 31, v3
	v_and_b32_e32 v5, exec_lo, v5
	v_xor_b32_e32 v34, s13, v3
	v_xor_b32_e32 v3, s12, v3
	v_and_b32_e32 v5, v5, v3
	v_lshlrev_b32_e32 v3, 29, v4
	v_cmp_gt_i64_e64 s[12:13], 0, v[2:3]
	v_not_b32_e32 v3, v3
	v_ashrrev_i32_e32 v3, 31, v3
	v_and_b32_e32 v33, v33, v34
	v_xor_b32_e32 v34, s13, v3
	v_xor_b32_e32 v3, s12, v3
	v_and_b32_e32 v5, v5, v3
	v_lshlrev_b32_e32 v3, 28, v4
	v_cmp_gt_i64_e64 s[12:13], 0, v[2:3]
	v_not_b32_e32 v3, v3
	v_ashrrev_i32_e32 v3, 31, v3
	v_and_b32_e32 v33, v33, v34
	;; [unrolled: 8-line block ×5, first 2 shown]
	v_xor_b32_e32 v34, s13, v3
	v_xor_b32_e32 v3, s12, v3
	v_and_b32_e32 v5, v5, v3
	v_lshlrev_b32_e32 v3, 24, v4
	v_cmp_gt_i64_e64 s[12:13], 0, v[2:3]
	v_not_b32_e32 v2, v3
	v_ashrrev_i32_e32 v2, 31, v2
	v_xor_b32_e32 v3, s13, v2
	v_xor_b32_e32 v2, s12, v2
	; wave barrier
	ds_read_b32 v9, v32 offset:64
	v_and_b32_e32 v33, v33, v34
	v_and_b32_e32 v2, v5, v2
	;; [unrolled: 1-line block ×3, first 2 shown]
	v_mbcnt_lo_u32_b32 v4, v2, 0
	v_mbcnt_hi_u32_b32 v33, v3, v4
	v_cmp_eq_u32_e64 s[12:13], 0, v33
	v_cmp_ne_u64_e64 s[14:15], 0, v[2:3]
	v_add_u32_e32 v27, 64, v14
	s_and_b64 s[14:15], s[14:15], s[12:13]
	; wave barrier
	s_and_saveexec_b64 s[12:13], s[14:15]
	s_cbranch_execz .LBB15_25
; %bb.24:
	v_bcnt_u32_b32 v2, v2, 0
	v_bcnt_u32_b32 v2, v3, v2
	s_waitcnt lgkmcnt(0)
	v_add_u32_e32 v2, v9, v2
	ds_write_b32 v32, v2 offset:64
.LBB15_25:
	s_or_b64 exec, exec, s[12:13]
	; wave barrier
	s_waitcnt lgkmcnt(0)
	s_barrier
	ds_read2_b32 v[4:5], v14 offset0:16 offset1:17
	ds_read2_b32 v[2:3], v27 offset0:2 offset1:3
	ds_read_b32 v34, v27 offset:16
	v_cmp_lt_u32_e64 s[20:21], 31, v12
	s_waitcnt lgkmcnt(1)
	v_add3_u32 v35, v5, v4, v2
	s_waitcnt lgkmcnt(0)
	v_add3_u32 v34, v35, v3, v34
	v_and_b32_e32 v35, 15, v12
	v_cmp_eq_u32_e64 s[12:13], 0, v35
	v_mov_b32_dpp v36, v34 row_shr:1 row_mask:0xf bank_mask:0xf
	v_cndmask_b32_e64 v36, v36, 0, s[12:13]
	v_add_u32_e32 v34, v36, v34
	v_cmp_lt_u32_e64 s[14:15], 1, v35
	v_cmp_lt_u32_e64 s[16:17], 3, v35
	v_mov_b32_dpp v36, v34 row_shr:2 row_mask:0xf bank_mask:0xf
	v_cndmask_b32_e64 v36, 0, v36, s[14:15]
	v_add_u32_e32 v34, v34, v36
	v_cmp_lt_u32_e64 s[18:19], 7, v35
	s_nop 0
	v_mov_b32_dpp v36, v34 row_shr:4 row_mask:0xf bank_mask:0xf
	v_cndmask_b32_e64 v36, 0, v36, s[16:17]
	v_add_u32_e32 v34, v34, v36
	s_nop 1
	v_mov_b32_dpp v36, v34 row_shr:8 row_mask:0xf bank_mask:0xf
	v_cndmask_b32_e64 v35, 0, v36, s[18:19]
	v_add_u32_e32 v34, v34, v35
	v_bfe_i32 v36, v12, 4, 1
	s_nop 0
	v_mov_b32_dpp v35, v34 row_bcast:15 row_mask:0xf bank_mask:0xf
	v_and_b32_e32 v35, v36, v35
	v_add_u32_e32 v34, v34, v35
	v_and_b32_e32 v36, 63, v6
	s_nop 0
	v_mov_b32_dpp v35, v34 row_bcast:31 row_mask:0xf bank_mask:0xf
	v_cndmask_b32_e64 v35, 0, v35, s[20:21]
	v_add_u32_e32 v34, v34, v35
	v_lshrrev_b32_e32 v35, 6, v6
	v_cmp_eq_u32_e64 s[20:21], 63, v36
	s_and_saveexec_b64 s[22:23], s[20:21]
	s_cbranch_execz .LBB15_27
; %bb.26:
	v_lshlrev_b32_e32 v36, 2, v35
	ds_write_b32 v36, v34
.LBB15_27:
	s_or_b64 exec, exec, s[22:23]
	v_cmp_gt_u32_e64 s[20:21], 16, v6
	s_waitcnt lgkmcnt(0)
	s_barrier
	s_and_saveexec_b64 s[22:23], s[20:21]
	s_cbranch_execz .LBB15_29
; %bb.28:
	v_lshlrev_b32_e32 v36, 2, v6
	ds_read_b32 v37, v36
	s_waitcnt lgkmcnt(0)
	s_nop 0
	v_mov_b32_dpp v38, v37 row_shr:1 row_mask:0xf bank_mask:0xf
	v_cndmask_b32_e64 v38, v38, 0, s[12:13]
	v_add_u32_e32 v37, v38, v37
	s_nop 1
	v_mov_b32_dpp v38, v37 row_shr:2 row_mask:0xf bank_mask:0xf
	v_cndmask_b32_e64 v38, 0, v38, s[14:15]
	v_add_u32_e32 v37, v37, v38
	;; [unrolled: 4-line block ×4, first 2 shown]
	ds_write_b32 v36, v37
.LBB15_29:
	s_or_b64 exec, exec, s[22:23]
	v_cmp_lt_u32_e64 s[12:13], 63, v6
	v_mov_b32_e32 v36, 0
	s_waitcnt lgkmcnt(0)
	s_barrier
	s_and_saveexec_b64 s[14:15], s[12:13]
	s_cbranch_execz .LBB15_31
; %bb.30:
	v_lshl_add_u32 v35, v35, 2, -4
	ds_read_b32 v36, v35
.LBB15_31:
	s_or_b64 exec, exec, s[14:15]
	v_add_u32_e32 v35, -1, v12
	v_and_b32_e32 v37, 64, v12
	v_cmp_lt_i32_e64 s[12:13], v35, v37
	v_cndmask_b32_e64 v35, v35, v12, s[12:13]
	s_waitcnt lgkmcnt(0)
	v_add_u32_e32 v34, v36, v34
	v_lshlrev_b32_e32 v35, 2, v35
	ds_bpermute_b32 v34, v35, v34
	v_cmp_eq_u32_e64 s[12:13], 0, v12
	s_waitcnt lgkmcnt(0)
	v_cndmask_b32_e64 v34, v34, v36, s[12:13]
	v_cmp_ne_u32_e64 s[12:13], 0, v6
	v_cndmask_b32_e64 v34, 0, v34, s[12:13]
	v_add_u32_e32 v4, v34, v4
	v_add_u32_e32 v5, v4, v5
	;; [unrolled: 1-line block ×4, first 2 shown]
	ds_write2_b32 v14, v34, v4 offset0:16 offset1:17
	ds_write2_b32 v27, v5, v2 offset0:2 offset1:3
	ds_write_b32 v27, v3 offset:16
	s_waitcnt lgkmcnt(0)
	s_barrier
	ds_read_b32 v4, v18 offset:64
	ds_read_b32 v5, v19 offset:64
	ds_read_b32 v14, v20 offset:64
	ds_read_b32 v18, v25 offset:64
	ds_read_b32 v19, v26 offset:64
	ds_read_b32 v32, v32 offset:64
	s_movk_i32 s12, 0x100
	v_cmp_gt_u32_e64 s[12:13], s12, v6
	v_pk_mov_b32 v[2:3], 0, 0
                                        ; implicit-def: $vgpr20
	s_and_saveexec_b64 s[16:17], s[12:13]
	s_cbranch_execz .LBB15_35
; %bb.32:
	v_mul_u32_u24_e32 v2, 17, v6
	v_lshlrev_b32_e32 v20, 2, v2
	ds_read_b32 v2, v20 offset:64
	s_movk_i32 s14, 0xff
	v_cmp_ne_u32_e64 s[14:15], s14, v6
	v_mov_b32_e32 v3, 0x1800
	s_and_saveexec_b64 s[18:19], s[14:15]
	s_cbranch_execz .LBB15_34
; %bb.33:
	ds_read_b32 v3, v20 offset:132
.LBB15_34:
	s_or_b64 exec, exec, s[18:19]
	s_waitcnt lgkmcnt(0)
	v_sub_u32_e32 v20, v3, v2
	v_mov_b32_e32 v3, 0
.LBB15_35:
	s_or_b64 exec, exec, s[16:17]
	s_waitcnt lgkmcnt(5)
	v_add_u32_e32 v27, v4, v15
	s_waitcnt lgkmcnt(4)
	v_add3_u32 v26, v21, v17, v5
	v_lshlrev_b32_e32 v4, 1, v27
	s_waitcnt lgkmcnt(3)
	v_add3_u32 v25, v24, v23, v14
	s_waitcnt lgkmcnt(0)
	s_barrier
	ds_write_b16 v4, v13 offset:2048
	v_lshlrev_b32_e32 v4, 1, v26
	v_add3_u32 v24, v28, v11, v18
	ds_write_b16 v4, v16 offset:2048
	v_lshlrev_b32_e32 v4, 1, v25
	v_add3_u32 v23, v31, v30, v19
	;; [unrolled: 3-line block ×3, first 2 shown]
	ds_write_b16 v4, v10 offset:2048
	v_lshlrev_b32_e32 v4, 1, v23
	ds_write_b16 v4, v29 offset:2048
	v_lshlrev_b32_e32 v4, 1, v21
	ds_write_b16 v4, v8 offset:2048
	s_waitcnt lgkmcnt(0)
	s_barrier
	s_and_saveexec_b64 s[16:17], s[12:13]
	s_cbranch_execz .LBB15_45
; %bb.36:
	v_lshl_or_b32 v4, s6, 8, v6
	v_mov_b32_e32 v5, 0
	v_lshlrev_b64 v[8:9], 2, v[4:5]
	v_mov_b32_e32 v13, s35
	v_add_co_u32_e64 v8, s[14:15], s34, v8
	v_addc_co_u32_e64 v9, s[14:15], v13, v9, s[14:15]
	v_or_b32_e32 v4, 2.0, v20
	s_mov_b64 s[18:19], 0
	s_brev_b32 s24, 1
	s_mov_b32 s25, s6
	v_mov_b32_e32 v14, 0
	global_store_dword v[8:9], v4, off
                                        ; implicit-def: $sgpr14_sgpr15
	s_branch .LBB15_38
.LBB15_37:                              ;   in Loop: Header=BB15_38 Depth=1
	s_or_b64 exec, exec, s[20:21]
	v_and_b32_e32 v10, 0x3fffffff, v15
	v_add_u32_e32 v14, v10, v14
	v_cmp_eq_u32_e64 s[14:15], s24, v4
	s_and_b64 s[20:21], exec, s[14:15]
	s_or_b64 s[18:19], s[20:21], s[18:19]
	s_andn2_b64 exec, exec, s[18:19]
	s_cbranch_execz .LBB15_44
.LBB15_38:                              ; =>This Loop Header: Depth=1
                                        ;     Child Loop BB15_41 Depth 2
	s_or_b64 s[14:15], s[14:15], exec
	s_cmp_eq_u32 s25, 0
	s_cbranch_scc1 .LBB15_43
; %bb.39:                               ;   in Loop: Header=BB15_38 Depth=1
	s_add_i32 s25, s25, -1
	v_lshl_or_b32 v4, s25, 8, v6
	v_lshlrev_b64 v[10:11], 2, v[4:5]
	v_add_co_u32_e64 v10, s[14:15], s34, v10
	v_addc_co_u32_e64 v11, s[14:15], v13, v11, s[14:15]
	global_load_dword v15, v[10:11], off glc
	s_waitcnt vmcnt(0)
	v_and_b32_e32 v4, -2.0, v15
	v_cmp_eq_u32_e64 s[14:15], 0, v4
	s_and_saveexec_b64 s[20:21], s[14:15]
	s_cbranch_execz .LBB15_37
; %bb.40:                               ;   in Loop: Header=BB15_38 Depth=1
	s_mov_b64 s[22:23], 0
.LBB15_41:                              ;   Parent Loop BB15_38 Depth=1
                                        ; =>  This Inner Loop Header: Depth=2
	global_load_dword v15, v[10:11], off glc
	s_waitcnt vmcnt(0)
	v_and_b32_e32 v4, -2.0, v15
	v_cmp_ne_u32_e64 s[14:15], 0, v4
	s_or_b64 s[22:23], s[14:15], s[22:23]
	s_andn2_b64 exec, exec, s[22:23]
	s_cbranch_execnz .LBB15_41
; %bb.42:                               ;   in Loop: Header=BB15_38 Depth=1
	s_or_b64 exec, exec, s[22:23]
	s_branch .LBB15_37
.LBB15_43:                              ;   in Loop: Header=BB15_38 Depth=1
                                        ; implicit-def: $sgpr25
	s_and_b64 s[20:21], exec, s[14:15]
	s_or_b64 s[18:19], s[20:21], s[18:19]
	s_andn2_b64 exec, exec, s[18:19]
	s_cbranch_execnz .LBB15_38
.LBB15_44:
	s_or_b64 exec, exec, s[18:19]
	v_add_u32_e32 v4, v14, v20
	v_or_b32_e32 v4, 0x80000000, v4
	global_store_dword v[8:9], v4, off
	v_lshlrev_b32_e32 v8, 3, v6
	global_load_dwordx2 v[4:5], v8, s[44:45]
	v_sub_co_u32_e64 v9, s[14:15], v14, v2
	v_subb_co_u32_e64 v10, s[14:15], 0, v3, s[14:15]
	s_waitcnt vmcnt(0)
	v_add_co_u32_e64 v4, s[14:15], v9, v4
	v_addc_co_u32_e64 v5, s[14:15], v10, v5, s[14:15]
	ds_write_b64 v8, v[4:5]
.LBB15_45:
	s_or_b64 exec, exec, s[16:17]
	v_cmp_gt_u32_e64 s[14:15], s50, v6
	v_lshlrev_b32_e32 v32, 1, v6
	s_waitcnt lgkmcnt(0)
	s_barrier
	s_and_saveexec_b64 s[18:19], s[14:15]
	s_cbranch_execz .LBB15_47
; %bb.46:
	ds_read_u16 v8, v32 offset:2048
	v_mov_b32_e32 v9, s39
	s_waitcnt lgkmcnt(0)
	v_lshrrev_b32_sdwa v4, s48, v8 dst_sel:DWORD dst_unused:UNUSED_PAD src0_sel:DWORD src1_sel:WORD_0
	v_and_b32_e32 v4, s33, v4
	v_lshlrev_b32_e32 v4, 3, v4
	ds_read_b64 v[4:5], v4
	v_xor_b32_e32 v8, -1, v8
	s_waitcnt lgkmcnt(0)
	v_lshlrev_b64 v[4:5], 1, v[4:5]
	v_add_co_u32_e64 v4, s[16:17], s38, v4
	v_addc_co_u32_e64 v5, s[16:17], v9, v5, s[16:17]
	v_add_co_u32_e64 v4, s[16:17], v4, v32
	v_addc_co_u32_e64 v5, s[16:17], 0, v5, s[16:17]
	global_store_short v[4:5], v8, off
.LBB15_47:
	s_or_b64 exec, exec, s[18:19]
	v_or_b32_e32 v22, 0x400, v6
	v_cmp_gt_u32_e64 s[16:17], s50, v22
	s_and_saveexec_b64 s[20:21], s[16:17]
	s_cbranch_execz .LBB15_49
; %bb.48:
	ds_read_u16 v8, v32 offset:4096
	v_mov_b32_e32 v9, s39
	s_waitcnt lgkmcnt(0)
	v_lshrrev_b32_sdwa v4, s48, v8 dst_sel:DWORD dst_unused:UNUSED_PAD src0_sel:DWORD src1_sel:WORD_0
	v_and_b32_e32 v4, s33, v4
	v_lshlrev_b32_e32 v4, 3, v4
	ds_read_b64 v[4:5], v4
	v_xor_b32_e32 v8, -1, v8
	s_waitcnt lgkmcnt(0)
	v_lshlrev_b64 v[4:5], 1, v[4:5]
	v_add_co_u32_e64 v4, s[18:19], s38, v4
	v_addc_co_u32_e64 v5, s[18:19], v9, v5, s[18:19]
	v_add_co_u32_e64 v4, s[18:19], v4, v32
	v_addc_co_u32_e64 v5, s[18:19], 0, v5, s[18:19]
	global_store_short v[4:5], v8, off offset:2048
.LBB15_49:
	s_or_b64 exec, exec, s[20:21]
	v_or_b32_e32 v28, 0x800, v6
	v_cmp_gt_u32_e64 s[18:19], s50, v28
	s_and_saveexec_b64 s[22:23], s[18:19]
	s_cbranch_execz .LBB15_51
; %bb.50:
	ds_read_u16 v8, v32 offset:6144
	v_mov_b32_e32 v9, s39
	v_lshlrev_b32_e32 v10, 1, v28
	s_waitcnt lgkmcnt(0)
	v_lshrrev_b32_sdwa v4, s48, v8 dst_sel:DWORD dst_unused:UNUSED_PAD src0_sel:DWORD src1_sel:WORD_0
	v_and_b32_e32 v4, s33, v4
	v_lshlrev_b32_e32 v4, 3, v4
	ds_read_b64 v[4:5], v4
	v_xor_b32_e32 v8, -1, v8
	s_waitcnt lgkmcnt(0)
	v_lshlrev_b64 v[4:5], 1, v[4:5]
	v_add_co_u32_e64 v4, s[20:21], s38, v4
	v_addc_co_u32_e64 v5, s[20:21], v9, v5, s[20:21]
	v_add_co_u32_e64 v4, s[20:21], v4, v10
	v_addc_co_u32_e64 v5, s[20:21], 0, v5, s[20:21]
	global_store_short v[4:5], v8, off
.LBB15_51:
	s_or_b64 exec, exec, s[22:23]
	v_or_b32_e32 v29, 0xc00, v6
	v_cmp_gt_u32_e64 s[20:21], s50, v29
	s_and_saveexec_b64 s[24:25], s[20:21]
	s_cbranch_execz .LBB15_53
; %bb.52:
	ds_read_u16 v8, v32 offset:8192
	v_mov_b32_e32 v9, s39
	v_lshlrev_b32_e32 v10, 1, v29
	s_waitcnt lgkmcnt(0)
	v_lshrrev_b32_sdwa v4, s48, v8 dst_sel:DWORD dst_unused:UNUSED_PAD src0_sel:DWORD src1_sel:WORD_0
	v_and_b32_e32 v4, s33, v4
	v_lshlrev_b32_e32 v4, 3, v4
	ds_read_b64 v[4:5], v4
	v_xor_b32_e32 v8, -1, v8
	s_waitcnt lgkmcnt(0)
	v_lshlrev_b64 v[4:5], 1, v[4:5]
	v_add_co_u32_e64 v4, s[22:23], s38, v4
	v_addc_co_u32_e64 v5, s[22:23], v9, v5, s[22:23]
	v_add_co_u32_e64 v4, s[22:23], v4, v10
	v_addc_co_u32_e64 v5, s[22:23], 0, v5, s[22:23]
	global_store_short v[4:5], v8, off
.LBB15_53:
	;; [unrolled: 23-line block ×4, first 2 shown]
	s_or_b64 exec, exec, s[50:51]
	s_lshl_b64 s[28:29], s[30:31], 3
	s_add_u32 s28, s40, s28
	s_addc_u32 s29, s41, s29
	v_lshlrev_b32_e32 v4, 3, v12
	v_mov_b32_e32 v5, s29
	v_add_co_u32_e64 v4, s[28:29], s28, v4
	v_addc_co_u32_e64 v5, s[28:29], 0, v5, s[28:29]
	v_lshlrev_b32_e32 v7, 3, v7
	v_add_co_u32_e64 v18, s[28:29], v4, v7
	v_addc_co_u32_e64 v19, s[28:29], 0, v5, s[28:29]
                                        ; implicit-def: $vgpr4_vgpr5
	s_and_saveexec_b64 s[28:29], vcc
	s_xor_b64 s[28:29], exec, s[28:29]
	s_cbranch_execnz .LBB15_127
; %bb.58:
	s_or_b64 exec, exec, s[28:29]
                                        ; implicit-def: $vgpr8_vgpr9
	s_and_saveexec_b64 s[28:29], s[0:1]
	s_cbranch_execnz .LBB15_128
.LBB15_59:
	s_or_b64 exec, exec, s[28:29]
                                        ; implicit-def: $vgpr10_vgpr11
	s_and_saveexec_b64 s[0:1], s[2:3]
	s_cbranch_execnz .LBB15_129
.LBB15_60:
	s_or_b64 exec, exec, s[0:1]
                                        ; implicit-def: $vgpr12_vgpr13
	s_and_saveexec_b64 s[0:1], s[26:27]
	s_cbranch_execnz .LBB15_130
.LBB15_61:
	s_or_b64 exec, exec, s[0:1]
                                        ; implicit-def: $vgpr14_vgpr15
	s_and_saveexec_b64 s[0:1], s[8:9]
	s_cbranch_execnz .LBB15_131
.LBB15_62:
	s_or_b64 exec, exec, s[0:1]
                                        ; implicit-def: $vgpr16_vgpr17
	s_and_saveexec_b64 s[0:1], s[10:11]
	s_cbranch_execz .LBB15_64
.LBB15_63:
	global_load_dwordx2 v[16:17], v[18:19], off offset:2560
.LBB15_64:
	s_or_b64 exec, exec, s[0:1]
	v_mov_b32_e32 v33, 0
	v_mov_b32_e32 v35, 0
	s_and_saveexec_b64 s[0:1], s[14:15]
	s_cbranch_execz .LBB15_66
; %bb.65:
	ds_read_u16 v7, v32 offset:2048
	s_waitcnt lgkmcnt(0)
	v_lshrrev_b32_e32 v7, s48, v7
	v_and_b32_e32 v35, s33, v7
.LBB15_66:
	s_or_b64 exec, exec, s[0:1]
	s_and_saveexec_b64 s[0:1], s[16:17]
	s_cbranch_execz .LBB15_68
; %bb.67:
	ds_read_u16 v7, v32 offset:4096
	s_waitcnt lgkmcnt(0)
	v_lshrrev_b32_e32 v7, s48, v7
	v_and_b32_e32 v33, s33, v7
.LBB15_68:
	s_or_b64 exec, exec, s[0:1]
	v_mov_b32_e32 v18, 0
	v_mov_b32_e32 v34, 0
	s_and_saveexec_b64 s[0:1], s[18:19]
	s_cbranch_execz .LBB15_70
; %bb.69:
	ds_read_u16 v7, v32 offset:6144
	s_waitcnt lgkmcnt(0)
	v_lshrrev_b32_e32 v7, s48, v7
	v_and_b32_e32 v34, s33, v7
.LBB15_70:
	s_or_b64 exec, exec, s[0:1]
	s_and_saveexec_b64 s[0:1], s[20:21]
	s_cbranch_execz .LBB15_72
; %bb.71:
	ds_read_u16 v7, v32 offset:8192
	s_waitcnt lgkmcnt(0)
	v_lshrrev_b32_e32 v7, s48, v7
	v_and_b32_e32 v18, s33, v7
.LBB15_72:
	;; [unrolled: 20-line block ×3, first 2 shown]
	s_or_b64 exec, exec, s[0:1]
	v_lshlrev_b32_e32 v27, 3, v27
	s_barrier
	s_waitcnt vmcnt(0)
	ds_write_b64 v27, v[4:5] offset:2048
	v_lshlrev_b32_e32 v4, 3, v26
	ds_write_b64 v4, v[8:9] offset:2048
	v_lshlrev_b32_e32 v4, 3, v25
	;; [unrolled: 2-line block ×6, first 2 shown]
	s_waitcnt lgkmcnt(0)
	s_barrier
	s_and_saveexec_b64 s[0:1], s[14:15]
	s_cbranch_execnz .LBB15_132
; %bb.77:
	s_or_b64 exec, exec, s[0:1]
	s_and_saveexec_b64 s[0:1], s[16:17]
	s_cbranch_execnz .LBB15_133
.LBB15_78:
	s_or_b64 exec, exec, s[0:1]
	s_and_saveexec_b64 s[0:1], s[18:19]
	s_cbranch_execnz .LBB15_134
.LBB15_79:
	s_or_b64 exec, exec, s[0:1]
	s_and_saveexec_b64 s[0:1], s[20:21]
	s_cbranch_execnz .LBB15_135
.LBB15_80:
	s_or_b64 exec, exec, s[0:1]
	s_and_saveexec_b64 s[0:1], s[22:23]
	s_cbranch_execnz .LBB15_136
.LBB15_81:
	s_or_b64 exec, exec, s[0:1]
	s_and_saveexec_b64 s[0:1], s[24:25]
	s_cbranch_execz .LBB15_83
.LBB15_82:
	v_lshlrev_b32_e32 v5, 3, v7
	ds_read_b64 v[8:9], v5
	ds_read_b64 v[4:5], v4 offset:43008
	v_mov_b32_e32 v7, s43
	s_waitcnt lgkmcnt(1)
	v_lshlrev_b64 v[8:9], 3, v[8:9]
	v_add_co_u32_e32 v8, vcc, s42, v8
	v_addc_co_u32_e32 v7, vcc, v7, v9, vcc
	v_lshlrev_b32_e32 v9, 3, v31
	v_add_co_u32_e32 v8, vcc, v8, v9
	v_addc_co_u32_e32 v9, vcc, 0, v7, vcc
	s_waitcnt lgkmcnt(0)
	global_store_dwordx2 v[8:9], v[4:5], off
.LBB15_83:
	s_or_b64 exec, exec, s[0:1]
	s_add_i32 s7, s7, -1
	s_cmp_eq_u32 s6, s7
	s_cselect_b64 s[0:1], -1, 0
	s_and_b64 s[2:3], s[12:13], s[0:1]
	s_mov_b64 s[0:1], 0
	s_mov_b64 s[10:11], 0
                                        ; implicit-def: $vgpr4_vgpr5
	s_and_saveexec_b64 s[8:9], s[2:3]
	s_xor_b64 s[2:3], exec, s[8:9]
; %bb.84:
	v_add_co_u32_e32 v4, vcc, v2, v20
	s_mov_b64 s[10:11], exec
	v_mov_b32_e32 v7, 0
	v_addc_co_u32_e32 v5, vcc, 0, v3, vcc
; %bb.85:
	s_or_b64 exec, exec, s[2:3]
	s_and_b64 vcc, exec, s[0:1]
	s_cbranch_vccnz .LBB15_87
	s_branch .LBB15_124
.LBB15_86:
	s_mov_b64 s[10:11], 0
                                        ; implicit-def: $vgpr4_vgpr5
                                        ; implicit-def: $vgpr6_vgpr7
	s_cbranch_execz .LBB15_124
.LBB15_87:
	v_and_b32_e32 v6, 0x3ff, v0
	s_mov_b32 s31, 0
	s_lshl_b64 s[0:1], s[30:31], 1
	v_mbcnt_hi_u32_b32 v11, -1, v1
	v_and_b32_e32 v1, 0x3c0, v6
	s_add_u32 s0, s36, s0
	v_mul_u32_u24_e32 v10, 6, v1
	v_lshlrev_b32_e32 v1, 1, v11
	v_add_co_u32_e32 v1, vcc, s0, v1
	s_load_dword s7, s[4:5], 0x50
	s_load_dword s0, s[4:5], 0x5c
	s_addc_u32 s1, s37, s1
	v_mov_b32_e32 v3, s1
	v_addc_co_u32_e32 v3, vcc, 0, v3, vcc
	v_lshlrev_b32_e32 v4, 1, v10
	s_add_u32 s1, s4, 0x50
	v_add_co_u32_e32 v12, vcc, v1, v4
	s_addc_u32 s2, s5, 0
	s_waitcnt lgkmcnt(0)
	s_lshr_b32 s3, s0, 16
	v_addc_co_u32_e32 v13, vcc, 0, v3, vcc
	s_cmp_lt_u32 s6, s7
	global_load_ushort v1, v[12:13], off
	s_cselect_b32 s0, 12, 18
	s_add_u32 s0, s1, s0
	v_mov_b32_e32 v2, 0
	s_addc_u32 s1, s2, 0
	global_load_ushort v3, v2, s[0:1]
	v_mul_u32_u24_e32 v5, 5, v6
	v_lshlrev_b32_e32 v5, 2, v5
	ds_write2_b32 v5, v2, v2 offset0:16 offset1:17
	ds_write2_b32 v5, v2, v2 offset0:18 offset1:19
	ds_write_b32 v5, v2 offset:80
	global_load_ushort v9, v[12:13], off offset:128
	global_load_ushort v15, v[12:13], off offset:256
	;; [unrolled: 1-line block ×5, first 2 shown]
	v_bfe_u32 v4, v0, 10, 10
	v_bfe_u32 v0, v0, 20, 10
	v_mad_u32_u24 v0, v0, s3, v4
	s_lshl_b32 s0, -1, s49
	s_not_b32 s14, s0
	s_waitcnt lgkmcnt(0)
	s_barrier
	s_waitcnt lgkmcnt(0)
	; wave barrier
	s_waitcnt vmcnt(6)
	v_xor_b32_e32 v4, -1, v1
	v_lshrrev_b32_sdwa v1, s48, v4 dst_sel:DWORD dst_unused:UNUSED_PAD src0_sel:DWORD src1_sel:WORD_0
	v_and_b32_e32 v8, s14, v1
	s_waitcnt vmcnt(5)
	v_mad_u64_u32 v[0:1], s[0:1], v0, v3, v[6:7]
	v_and_b32_e32 v7, 1, v8
	v_lshrrev_b32_e32 v18, 6, v0
	v_add_co_u32_e32 v0, vcc, -1, v7
	v_lshlrev_b32_e32 v3, 30, v8
	v_addc_co_u32_e64 v12, s[0:1], 0, -1, vcc
	v_mul_u32_u24_e32 v1, 17, v8
	v_cmp_ne_u32_e32 vcc, 0, v7
	v_cmp_gt_i64_e64 s[0:1], 0, v[2:3]
	v_not_b32_e32 v13, v3
	v_lshlrev_b32_e32 v3, 29, v8
	v_add_lshl_u32 v7, v18, v1, 2
	v_xor_b32_e32 v1, vcc_hi, v12
	v_xor_b32_e32 v0, vcc_lo, v0
	v_ashrrev_i32_e32 v12, 31, v13
	v_cmp_gt_i64_e32 vcc, 0, v[2:3]
	v_not_b32_e32 v13, v3
	v_lshlrev_b32_e32 v3, 28, v8
	v_and_b32_e32 v1, exec_hi, v1
	v_and_b32_e32 v0, exec_lo, v0
	v_xor_b32_e32 v14, s1, v12
	v_xor_b32_e32 v12, s0, v12
	v_ashrrev_i32_e32 v13, 31, v13
	v_cmp_gt_i64_e64 s[0:1], 0, v[2:3]
	v_not_b32_e32 v16, v3
	v_lshlrev_b32_e32 v3, 27, v8
	v_and_b32_e32 v1, v1, v14
	v_and_b32_e32 v0, v0, v12
	v_xor_b32_e32 v12, vcc_hi, v13
	v_xor_b32_e32 v13, vcc_lo, v13
	v_ashrrev_i32_e32 v14, 31, v16
	v_cmp_gt_i64_e32 vcc, 0, v[2:3]
	v_not_b32_e32 v3, v3
	v_and_b32_e32 v1, v1, v12
	v_and_b32_e32 v0, v0, v13
	v_xor_b32_e32 v12, s1, v14
	v_xor_b32_e32 v13, s0, v14
	v_ashrrev_i32_e32 v3, 31, v3
	v_and_b32_e32 v1, v1, v12
	v_and_b32_e32 v0, v0, v13
	v_xor_b32_e32 v12, vcc_hi, v3
	v_xor_b32_e32 v3, vcc_lo, v3
	v_and_b32_e32 v0, v0, v3
	v_lshlrev_b32_e32 v3, 26, v8
	v_cmp_gt_i64_e32 vcc, 0, v[2:3]
	v_not_b32_e32 v3, v3
	v_ashrrev_i32_e32 v3, 31, v3
	v_and_b32_e32 v1, v1, v12
	v_xor_b32_e32 v12, vcc_hi, v3
	v_xor_b32_e32 v3, vcc_lo, v3
	v_and_b32_e32 v0, v0, v3
	v_lshlrev_b32_e32 v3, 25, v8
	v_cmp_gt_i64_e32 vcc, 0, v[2:3]
	v_not_b32_e32 v3, v3
	v_ashrrev_i32_e32 v3, 31, v3
	;; [unrolled: 8-line block ×3, first 2 shown]
	v_xor_b32_e32 v8, vcc_hi, v3
	v_xor_b32_e32 v3, vcc_lo, v3
	v_and_b32_e32 v1, v1, v12
	v_and_b32_e32 v0, v0, v3
	;; [unrolled: 1-line block ×3, first 2 shown]
	v_mbcnt_lo_u32_b32 v3, v0, 0
	v_mbcnt_hi_u32_b32 v8, v1, v3
	v_cmp_eq_u32_e32 vcc, 0, v8
	v_cmp_ne_u64_e64 s[0:1], 0, v[0:1]
	s_and_b64 s[2:3], s[0:1], vcc
	s_and_saveexec_b64 s[0:1], s[2:3]
	s_cbranch_execz .LBB15_89
; %bb.88:
	v_bcnt_u32_b32 v0, v0, 0
	v_bcnt_u32_b32 v0, v1, v0
	ds_write_b32 v7, v0 offset:64
.LBB15_89:
	s_or_b64 exec, exec, s[0:1]
	s_waitcnt vmcnt(4)
	v_xor_b32_e32 v9, -1, v9
	v_lshrrev_b32_sdwa v0, s48, v9 dst_sel:DWORD dst_unused:UNUSED_PAD src0_sel:DWORD src1_sel:WORD_0
	v_and_b32_e32 v0, s14, v0
	v_mul_u32_u24_e32 v1, 17, v0
	v_add_lshl_u32 v13, v18, v1, 2
	v_and_b32_e32 v1, 1, v0
	v_add_co_u32_e32 v3, vcc, -1, v1
	v_addc_co_u32_e64 v14, s[0:1], 0, -1, vcc
	v_cmp_ne_u32_e32 vcc, 0, v1
	v_xor_b32_e32 v3, vcc_lo, v3
	v_xor_b32_e32 v1, vcc_hi, v14
	v_and_b32_e32 v14, exec_lo, v3
	v_lshlrev_b32_e32 v3, 30, v0
	v_cmp_gt_i64_e32 vcc, 0, v[2:3]
	v_not_b32_e32 v3, v3
	v_ashrrev_i32_e32 v3, 31, v3
	v_xor_b32_e32 v16, vcc_hi, v3
	v_xor_b32_e32 v3, vcc_lo, v3
	v_and_b32_e32 v14, v14, v3
	v_lshlrev_b32_e32 v3, 29, v0
	v_cmp_gt_i64_e32 vcc, 0, v[2:3]
	v_not_b32_e32 v3, v3
	v_and_b32_e32 v1, exec_hi, v1
	v_ashrrev_i32_e32 v3, 31, v3
	v_and_b32_e32 v1, v1, v16
	v_xor_b32_e32 v16, vcc_hi, v3
	v_xor_b32_e32 v3, vcc_lo, v3
	v_and_b32_e32 v14, v14, v3
	v_lshlrev_b32_e32 v3, 28, v0
	v_cmp_gt_i64_e32 vcc, 0, v[2:3]
	v_not_b32_e32 v3, v3
	v_ashrrev_i32_e32 v3, 31, v3
	v_and_b32_e32 v1, v1, v16
	v_xor_b32_e32 v16, vcc_hi, v3
	v_xor_b32_e32 v3, vcc_lo, v3
	v_and_b32_e32 v14, v14, v3
	v_lshlrev_b32_e32 v3, 27, v0
	v_cmp_gt_i64_e32 vcc, 0, v[2:3]
	v_not_b32_e32 v3, v3
	;; [unrolled: 8-line block ×4, first 2 shown]
	v_ashrrev_i32_e32 v3, 31, v3
	v_and_b32_e32 v1, v1, v16
	v_xor_b32_e32 v16, vcc_hi, v3
	v_xor_b32_e32 v3, vcc_lo, v3
	v_and_b32_e32 v14, v14, v3
	v_lshlrev_b32_e32 v3, 24, v0
	v_not_b32_e32 v0, v3
	v_cmp_gt_i64_e32 vcc, 0, v[2:3]
	v_ashrrev_i32_e32 v0, 31, v0
	v_xor_b32_e32 v2, vcc_hi, v0
	v_xor_b32_e32 v0, vcc_lo, v0
	; wave barrier
	ds_read_b32 v12, v13 offset:64
	v_and_b32_e32 v1, v1, v16
	v_and_b32_e32 v0, v14, v0
	;; [unrolled: 1-line block ×3, first 2 shown]
	v_mbcnt_lo_u32_b32 v2, v0, 0
	v_mbcnt_hi_u32_b32 v14, v1, v2
	v_cmp_eq_u32_e32 vcc, 0, v14
	v_cmp_ne_u64_e64 s[0:1], 0, v[0:1]
	s_and_b64 s[2:3], s[0:1], vcc
	; wave barrier
	s_and_saveexec_b64 s[0:1], s[2:3]
	s_cbranch_execz .LBB15_91
; %bb.90:
	v_bcnt_u32_b32 v0, v0, 0
	v_bcnt_u32_b32 v0, v1, v0
	s_waitcnt lgkmcnt(0)
	v_add_u32_e32 v0, v12, v0
	ds_write_b32 v13, v0 offset:64
.LBB15_91:
	s_or_b64 exec, exec, s[0:1]
	s_waitcnt vmcnt(3)
	v_xor_b32_e32 v15, -1, v15
	v_lshrrev_b32_sdwa v0, s48, v15 dst_sel:DWORD dst_unused:UNUSED_PAD src0_sel:DWORD src1_sel:WORD_0
	v_and_b32_e32 v2, s14, v0
	v_and_b32_e32 v1, 1, v2
	v_add_co_u32_e32 v3, vcc, -1, v1
	v_addc_co_u32_e64 v20, s[0:1], 0, -1, vcc
	v_cmp_ne_u32_e32 vcc, 0, v1
	v_mul_u32_u24_e32 v0, 17, v2
	v_xor_b32_e32 v1, vcc_hi, v20
	v_add_lshl_u32 v19, v18, v0, 2
	v_mov_b32_e32 v0, 0
	v_and_b32_e32 v20, exec_hi, v1
	v_lshlrev_b32_e32 v1, 30, v2
	v_xor_b32_e32 v3, vcc_lo, v3
	v_cmp_gt_i64_e32 vcc, 0, v[0:1]
	v_not_b32_e32 v1, v1
	v_ashrrev_i32_e32 v1, 31, v1
	v_and_b32_e32 v3, exec_lo, v3
	v_xor_b32_e32 v22, vcc_hi, v1
	v_xor_b32_e32 v1, vcc_lo, v1
	v_and_b32_e32 v3, v3, v1
	v_lshlrev_b32_e32 v1, 29, v2
	v_cmp_gt_i64_e32 vcc, 0, v[0:1]
	v_not_b32_e32 v1, v1
	v_ashrrev_i32_e32 v1, 31, v1
	v_and_b32_e32 v20, v20, v22
	v_xor_b32_e32 v22, vcc_hi, v1
	v_xor_b32_e32 v1, vcc_lo, v1
	v_and_b32_e32 v3, v3, v1
	v_lshlrev_b32_e32 v1, 28, v2
	v_cmp_gt_i64_e32 vcc, 0, v[0:1]
	v_not_b32_e32 v1, v1
	v_ashrrev_i32_e32 v1, 31, v1
	v_and_b32_e32 v20, v20, v22
	;; [unrolled: 8-line block ×5, first 2 shown]
	v_xor_b32_e32 v22, vcc_hi, v1
	v_xor_b32_e32 v1, vcc_lo, v1
	v_and_b32_e32 v20, v20, v22
	v_and_b32_e32 v22, v3, v1
	v_lshlrev_b32_e32 v1, 24, v2
	v_cmp_gt_i64_e32 vcc, 0, v[0:1]
	v_not_b32_e32 v1, v1
	v_ashrrev_i32_e32 v1, 31, v1
	v_xor_b32_e32 v2, vcc_hi, v1
	v_xor_b32_e32 v1, vcc_lo, v1
	; wave barrier
	ds_read_b32 v16, v19 offset:64
	v_and_b32_e32 v3, v20, v2
	v_and_b32_e32 v2, v22, v1
	v_mbcnt_lo_u32_b32 v1, v2, 0
	v_mbcnt_hi_u32_b32 v20, v3, v1
	v_cmp_eq_u32_e32 vcc, 0, v20
	v_cmp_ne_u64_e64 s[0:1], 0, v[2:3]
	s_and_b64 s[2:3], s[0:1], vcc
	; wave barrier
	s_and_saveexec_b64 s[0:1], s[2:3]
	s_cbranch_execz .LBB15_93
; %bb.92:
	v_bcnt_u32_b32 v1, v2, 0
	v_bcnt_u32_b32 v1, v3, v1
	s_waitcnt lgkmcnt(0)
	v_add_u32_e32 v1, v16, v1
	ds_write_b32 v19, v1 offset:64
.LBB15_93:
	s_or_b64 exec, exec, s[0:1]
	s_waitcnt vmcnt(2)
	v_xor_b32_e32 v21, -1, v21
	v_lshrrev_b32_sdwa v1, s48, v21 dst_sel:DWORD dst_unused:UNUSED_PAD src0_sel:DWORD src1_sel:WORD_0
	v_and_b32_e32 v2, s14, v1
	v_mul_u32_u24_e32 v1, 17, v2
	v_add_lshl_u32 v24, v18, v1, 2
	v_and_b32_e32 v1, 1, v2
	v_add_co_u32_e32 v3, vcc, -1, v1
	v_addc_co_u32_e64 v25, s[0:1], 0, -1, vcc
	v_cmp_ne_u32_e32 vcc, 0, v1
	v_xor_b32_e32 v1, vcc_hi, v25
	v_and_b32_e32 v25, exec_hi, v1
	v_lshlrev_b32_e32 v1, 30, v2
	v_xor_b32_e32 v3, vcc_lo, v3
	v_cmp_gt_i64_e32 vcc, 0, v[0:1]
	v_not_b32_e32 v1, v1
	v_ashrrev_i32_e32 v1, 31, v1
	v_and_b32_e32 v3, exec_lo, v3
	v_xor_b32_e32 v26, vcc_hi, v1
	v_xor_b32_e32 v1, vcc_lo, v1
	v_and_b32_e32 v3, v3, v1
	v_lshlrev_b32_e32 v1, 29, v2
	v_cmp_gt_i64_e32 vcc, 0, v[0:1]
	v_not_b32_e32 v1, v1
	v_ashrrev_i32_e32 v1, 31, v1
	v_and_b32_e32 v25, v25, v26
	v_xor_b32_e32 v26, vcc_hi, v1
	v_xor_b32_e32 v1, vcc_lo, v1
	v_and_b32_e32 v3, v3, v1
	v_lshlrev_b32_e32 v1, 28, v2
	v_cmp_gt_i64_e32 vcc, 0, v[0:1]
	v_not_b32_e32 v1, v1
	v_ashrrev_i32_e32 v1, 31, v1
	v_and_b32_e32 v25, v25, v26
	;; [unrolled: 8-line block ×5, first 2 shown]
	v_xor_b32_e32 v26, vcc_hi, v1
	v_xor_b32_e32 v1, vcc_lo, v1
	v_and_b32_e32 v3, v3, v1
	v_lshlrev_b32_e32 v1, 24, v2
	v_cmp_gt_i64_e32 vcc, 0, v[0:1]
	v_not_b32_e32 v0, v1
	v_ashrrev_i32_e32 v0, 31, v0
	v_xor_b32_e32 v1, vcc_hi, v0
	v_xor_b32_e32 v0, vcc_lo, v0
	; wave barrier
	ds_read_b32 v22, v24 offset:64
	v_and_b32_e32 v25, v25, v26
	v_and_b32_e32 v0, v3, v0
	;; [unrolled: 1-line block ×3, first 2 shown]
	v_mbcnt_lo_u32_b32 v2, v0, 0
	v_mbcnt_hi_u32_b32 v25, v1, v2
	v_cmp_eq_u32_e32 vcc, 0, v25
	v_cmp_ne_u64_e64 s[0:1], 0, v[0:1]
	s_and_b64 s[2:3], s[0:1], vcc
	; wave barrier
	s_and_saveexec_b64 s[0:1], s[2:3]
	s_cbranch_execz .LBB15_95
; %bb.94:
	v_bcnt_u32_b32 v0, v0, 0
	v_bcnt_u32_b32 v0, v1, v0
	s_waitcnt lgkmcnt(0)
	v_add_u32_e32 v0, v22, v0
	ds_write_b32 v24, v0 offset:64
.LBB15_95:
	s_or_b64 exec, exec, s[0:1]
	s_waitcnt vmcnt(1)
	v_xor_b32_e32 v23, -1, v23
	v_lshrrev_b32_sdwa v0, s48, v23 dst_sel:DWORD dst_unused:UNUSED_PAD src0_sel:DWORD src1_sel:WORD_0
	v_and_b32_e32 v2, s14, v0
	v_and_b32_e32 v1, 1, v2
	v_add_co_u32_e32 v3, vcc, -1, v1
	v_addc_co_u32_e64 v28, s[0:1], 0, -1, vcc
	v_cmp_ne_u32_e32 vcc, 0, v1
	v_mul_u32_u24_e32 v0, 17, v2
	v_xor_b32_e32 v1, vcc_hi, v28
	v_add_lshl_u32 v27, v18, v0, 2
	v_mov_b32_e32 v0, 0
	v_and_b32_e32 v28, exec_hi, v1
	v_lshlrev_b32_e32 v1, 30, v2
	v_xor_b32_e32 v3, vcc_lo, v3
	v_cmp_gt_i64_e32 vcc, 0, v[0:1]
	v_not_b32_e32 v1, v1
	v_ashrrev_i32_e32 v1, 31, v1
	v_and_b32_e32 v3, exec_lo, v3
	v_xor_b32_e32 v29, vcc_hi, v1
	v_xor_b32_e32 v1, vcc_lo, v1
	v_and_b32_e32 v3, v3, v1
	v_lshlrev_b32_e32 v1, 29, v2
	v_cmp_gt_i64_e32 vcc, 0, v[0:1]
	v_not_b32_e32 v1, v1
	v_ashrrev_i32_e32 v1, 31, v1
	v_and_b32_e32 v28, v28, v29
	v_xor_b32_e32 v29, vcc_hi, v1
	v_xor_b32_e32 v1, vcc_lo, v1
	v_and_b32_e32 v3, v3, v1
	v_lshlrev_b32_e32 v1, 28, v2
	v_cmp_gt_i64_e32 vcc, 0, v[0:1]
	v_not_b32_e32 v1, v1
	v_ashrrev_i32_e32 v1, 31, v1
	v_and_b32_e32 v28, v28, v29
	;; [unrolled: 8-line block ×5, first 2 shown]
	v_xor_b32_e32 v29, vcc_hi, v1
	v_xor_b32_e32 v1, vcc_lo, v1
	v_and_b32_e32 v28, v28, v29
	v_and_b32_e32 v29, v3, v1
	v_lshlrev_b32_e32 v1, 24, v2
	v_cmp_gt_i64_e32 vcc, 0, v[0:1]
	v_not_b32_e32 v1, v1
	v_ashrrev_i32_e32 v1, 31, v1
	v_xor_b32_e32 v2, vcc_hi, v1
	v_xor_b32_e32 v1, vcc_lo, v1
	; wave barrier
	ds_read_b32 v26, v27 offset:64
	v_and_b32_e32 v3, v28, v2
	v_and_b32_e32 v2, v29, v1
	v_mbcnt_lo_u32_b32 v1, v2, 0
	v_mbcnt_hi_u32_b32 v28, v3, v1
	v_cmp_eq_u32_e32 vcc, 0, v28
	v_cmp_ne_u64_e64 s[0:1], 0, v[2:3]
	s_and_b64 s[2:3], s[0:1], vcc
	; wave barrier
	s_and_saveexec_b64 s[0:1], s[2:3]
	s_cbranch_execz .LBB15_97
; %bb.96:
	v_bcnt_u32_b32 v1, v2, 0
	v_bcnt_u32_b32 v1, v3, v1
	s_waitcnt lgkmcnt(0)
	v_add_u32_e32 v1, v26, v1
	ds_write_b32 v27, v1 offset:64
.LBB15_97:
	s_or_b64 exec, exec, s[0:1]
	s_waitcnt vmcnt(0)
	v_xor_b32_e32 v29, -1, v17
	v_lshrrev_b32_sdwa v1, s48, v29 dst_sel:DWORD dst_unused:UNUSED_PAD src0_sel:DWORD src1_sel:WORD_0
	v_and_b32_e32 v2, s14, v1
	v_mul_u32_u24_e32 v1, 17, v2
	v_add_lshl_u32 v17, v18, v1, 2
	v_and_b32_e32 v1, 1, v2
	v_add_co_u32_e32 v3, vcc, -1, v1
	v_addc_co_u32_e64 v18, s[0:1], 0, -1, vcc
	v_cmp_ne_u32_e32 vcc, 0, v1
	v_xor_b32_e32 v1, vcc_hi, v18
	v_and_b32_e32 v18, exec_hi, v1
	v_lshlrev_b32_e32 v1, 30, v2
	v_xor_b32_e32 v3, vcc_lo, v3
	v_cmp_gt_i64_e32 vcc, 0, v[0:1]
	v_not_b32_e32 v1, v1
	v_ashrrev_i32_e32 v1, 31, v1
	v_and_b32_e32 v3, exec_lo, v3
	v_xor_b32_e32 v32, vcc_hi, v1
	v_xor_b32_e32 v1, vcc_lo, v1
	v_and_b32_e32 v3, v3, v1
	v_lshlrev_b32_e32 v1, 29, v2
	v_cmp_gt_i64_e32 vcc, 0, v[0:1]
	v_not_b32_e32 v1, v1
	v_ashrrev_i32_e32 v1, 31, v1
	v_and_b32_e32 v18, v18, v32
	v_xor_b32_e32 v32, vcc_hi, v1
	v_xor_b32_e32 v1, vcc_lo, v1
	v_and_b32_e32 v3, v3, v1
	v_lshlrev_b32_e32 v1, 28, v2
	v_cmp_gt_i64_e32 vcc, 0, v[0:1]
	v_not_b32_e32 v1, v1
	v_ashrrev_i32_e32 v1, 31, v1
	v_and_b32_e32 v18, v18, v32
	;; [unrolled: 8-line block ×5, first 2 shown]
	v_xor_b32_e32 v32, vcc_hi, v1
	v_xor_b32_e32 v1, vcc_lo, v1
	v_and_b32_e32 v3, v3, v1
	v_lshlrev_b32_e32 v1, 24, v2
	v_cmp_gt_i64_e32 vcc, 0, v[0:1]
	v_not_b32_e32 v0, v1
	v_ashrrev_i32_e32 v0, 31, v0
	v_xor_b32_e32 v1, vcc_hi, v0
	v_xor_b32_e32 v0, vcc_lo, v0
	; wave barrier
	ds_read_b32 v30, v17 offset:64
	v_and_b32_e32 v18, v18, v32
	v_and_b32_e32 v0, v3, v0
	;; [unrolled: 1-line block ×3, first 2 shown]
	v_mbcnt_lo_u32_b32 v2, v0, 0
	v_mbcnt_hi_u32_b32 v32, v1, v2
	v_cmp_eq_u32_e32 vcc, 0, v32
	v_cmp_ne_u64_e64 s[0:1], 0, v[0:1]
	v_add_u32_e32 v31, 64, v5
	s_and_b64 s[2:3], s[0:1], vcc
	; wave barrier
	s_and_saveexec_b64 s[0:1], s[2:3]
	s_cbranch_execz .LBB15_99
; %bb.98:
	v_bcnt_u32_b32 v0, v0, 0
	v_bcnt_u32_b32 v0, v1, v0
	s_waitcnt lgkmcnt(0)
	v_add_u32_e32 v0, v30, v0
	ds_write_b32 v17, v0 offset:64
.LBB15_99:
	s_or_b64 exec, exec, s[0:1]
	; wave barrier
	s_waitcnt lgkmcnt(0)
	s_barrier
	ds_read2_b32 v[2:3], v5 offset0:16 offset1:17
	ds_read2_b32 v[0:1], v31 offset0:2 offset1:3
	ds_read_b32 v18, v31 offset:16
	v_cmp_lt_u32_e64 s[8:9], 31, v11
	s_waitcnt lgkmcnt(1)
	v_add3_u32 v33, v3, v2, v0
	s_waitcnt lgkmcnt(0)
	v_add3_u32 v18, v33, v1, v18
	v_and_b32_e32 v33, 15, v11
	v_cmp_eq_u32_e32 vcc, 0, v33
	v_mov_b32_dpp v34, v18 row_shr:1 row_mask:0xf bank_mask:0xf
	v_cndmask_b32_e64 v34, v34, 0, vcc
	v_add_u32_e32 v18, v34, v18
	v_cmp_lt_u32_e64 s[0:1], 1, v33
	v_cmp_lt_u32_e64 s[2:3], 3, v33
	v_mov_b32_dpp v34, v18 row_shr:2 row_mask:0xf bank_mask:0xf
	v_cndmask_b32_e64 v34, 0, v34, s[0:1]
	v_add_u32_e32 v18, v18, v34
	v_cmp_lt_u32_e64 s[4:5], 7, v33
	s_nop 0
	v_mov_b32_dpp v34, v18 row_shr:4 row_mask:0xf bank_mask:0xf
	v_cndmask_b32_e64 v34, 0, v34, s[2:3]
	v_add_u32_e32 v18, v18, v34
	s_nop 1
	v_mov_b32_dpp v34, v18 row_shr:8 row_mask:0xf bank_mask:0xf
	v_cndmask_b32_e64 v33, 0, v34, s[4:5]
	v_add_u32_e32 v18, v18, v33
	v_bfe_i32 v34, v11, 4, 1
	s_nop 0
	v_mov_b32_dpp v33, v18 row_bcast:15 row_mask:0xf bank_mask:0xf
	v_and_b32_e32 v33, v34, v33
	v_add_u32_e32 v18, v18, v33
	v_and_b32_e32 v34, 63, v6
	s_nop 0
	v_mov_b32_dpp v33, v18 row_bcast:31 row_mask:0xf bank_mask:0xf
	v_cndmask_b32_e64 v33, 0, v33, s[8:9]
	v_add_u32_e32 v18, v18, v33
	v_lshrrev_b32_e32 v33, 6, v6
	v_cmp_eq_u32_e64 s[8:9], 63, v34
	s_and_saveexec_b64 s[12:13], s[8:9]
	s_cbranch_execz .LBB15_101
; %bb.100:
	v_lshlrev_b32_e32 v34, 2, v33
	ds_write_b32 v34, v18
.LBB15_101:
	s_or_b64 exec, exec, s[12:13]
	v_cmp_gt_u32_e64 s[8:9], 16, v6
	s_waitcnt lgkmcnt(0)
	s_barrier
	s_and_saveexec_b64 s[12:13], s[8:9]
	s_cbranch_execz .LBB15_103
; %bb.102:
	v_lshlrev_b32_e32 v34, 2, v6
	ds_read_b32 v35, v34
	s_waitcnt lgkmcnt(0)
	s_nop 0
	v_mov_b32_dpp v36, v35 row_shr:1 row_mask:0xf bank_mask:0xf
	v_cndmask_b32_e64 v36, v36, 0, vcc
	v_add_u32_e32 v35, v36, v35
	s_nop 1
	v_mov_b32_dpp v36, v35 row_shr:2 row_mask:0xf bank_mask:0xf
	v_cndmask_b32_e64 v36, 0, v36, s[0:1]
	v_add_u32_e32 v35, v35, v36
	s_nop 1
	v_mov_b32_dpp v36, v35 row_shr:4 row_mask:0xf bank_mask:0xf
	v_cndmask_b32_e64 v36, 0, v36, s[2:3]
	;; [unrolled: 4-line block ×3, first 2 shown]
	v_add_u32_e32 v35, v35, v36
	ds_write_b32 v34, v35
.LBB15_103:
	s_or_b64 exec, exec, s[12:13]
	v_cmp_lt_u32_e32 vcc, 63, v6
	v_mov_b32_e32 v34, 0
	s_waitcnt lgkmcnt(0)
	s_barrier
	s_and_saveexec_b64 s[0:1], vcc
	s_cbranch_execz .LBB15_105
; %bb.104:
	v_lshl_add_u32 v33, v33, 2, -4
	ds_read_b32 v34, v33
.LBB15_105:
	s_or_b64 exec, exec, s[0:1]
	v_add_u32_e32 v33, -1, v11
	v_and_b32_e32 v35, 64, v11
	v_cmp_lt_i32_e32 vcc, v33, v35
	v_cndmask_b32_e32 v33, v33, v11, vcc
	s_waitcnt lgkmcnt(0)
	v_add_u32_e32 v18, v34, v18
	v_lshlrev_b32_e32 v33, 2, v33
	ds_bpermute_b32 v18, v33, v18
	v_cmp_eq_u32_e32 vcc, 0, v11
	s_movk_i32 s2, 0xff
	s_movk_i32 s3, 0x100
	v_cmp_lt_u32_e64 s[0:1], s2, v6
	s_waitcnt lgkmcnt(0)
	v_cndmask_b32_e32 v18, v18, v34, vcc
	v_cmp_ne_u32_e32 vcc, 0, v6
	v_cndmask_b32_e32 v18, 0, v18, vcc
	v_add_u32_e32 v2, v18, v2
	v_add_u32_e32 v3, v2, v3
	;; [unrolled: 1-line block ×4, first 2 shown]
	ds_write2_b32 v5, v18, v2 offset0:16 offset1:17
	ds_write2_b32 v31, v3, v0 offset0:2 offset1:3
	ds_write_b32 v31, v1 offset:16
	s_waitcnt lgkmcnt(0)
	s_barrier
	ds_read_b32 v2, v7 offset:64
	ds_read_b32 v3, v13 offset:64
	;; [unrolled: 1-line block ×6, first 2 shown]
	v_cmp_gt_u32_e32 vcc, s3, v6
	v_pk_mov_b32 v[0:1], 0, 0
                                        ; implicit-def: $vgpr13
	s_and_saveexec_b64 s[4:5], vcc
	s_cbranch_execz .LBB15_109
; %bb.106:
	v_mul_u32_u24_e32 v0, 17, v6
	v_lshlrev_b32_e32 v13, 2, v0
	ds_read_b32 v0, v13 offset:64
	v_cmp_ne_u32_e64 s[2:3], s2, v6
	v_mov_b32_e32 v1, 0x1800
	s_and_saveexec_b64 s[8:9], s[2:3]
	s_cbranch_execz .LBB15_108
; %bb.107:
	ds_read_b32 v1, v13 offset:132
.LBB15_108:
	s_or_b64 exec, exec, s[8:9]
	s_waitcnt lgkmcnt(0)
	v_sub_u32_e32 v13, v1, v0
	v_mov_b32_e32 v1, 0
.LBB15_109:
	s_or_b64 exec, exec, s[4:5]
	s_waitcnt lgkmcnt(5)
	v_add_u32_e32 v19, v2, v8
	s_waitcnt lgkmcnt(4)
	v_add3_u32 v18, v14, v12, v3
	v_lshlrev_b32_e32 v2, 1, v19
	s_waitcnt lgkmcnt(3)
	v_add3_u32 v17, v20, v16, v5
	s_waitcnt lgkmcnt(0)
	s_barrier
	ds_write_b16 v2, v4 offset:2048
	v_lshlrev_b32_e32 v2, 1, v18
	v_add3_u32 v16, v25, v22, v7
	ds_write_b16 v2, v9 offset:2048
	v_lshlrev_b32_e32 v2, 1, v17
	v_add3_u32 v14, v28, v26, v24
	;; [unrolled: 3-line block ×3, first 2 shown]
	ds_write_b16 v2, v21 offset:2048
	v_lshlrev_b32_e32 v2, 1, v14
	ds_write_b16 v2, v23 offset:2048
	v_lshlrev_b32_e32 v2, 1, v12
	ds_write_b16 v2, v29 offset:2048
	s_waitcnt lgkmcnt(0)
	s_barrier
	s_and_saveexec_b64 s[2:3], s[0:1]
	s_xor_b64 s[0:1], exec, s[2:3]
; %bb.110:
	v_mov_b32_e32 v7, 0
; %bb.111:
	s_andn2_saveexec_b64 s[2:3], s[0:1]
	s_cbranch_execz .LBB15_121
; %bb.112:
	v_lshl_or_b32 v2, s6, 8, v6
	v_mov_b32_e32 v3, 0
	v_lshlrev_b64 v[4:5], 2, v[2:3]
	v_mov_b32_e32 v7, s35
	v_add_co_u32_e64 v4, s[0:1], s34, v4
	v_addc_co_u32_e64 v5, s[0:1], v7, v5, s[0:1]
	v_or_b32_e32 v2, 2.0, v13
	s_mov_b64 s[4:5], 0
	s_brev_b32 s15, 1
	s_mov_b32 s16, s6
	v_mov_b32_e32 v15, 0
	global_store_dword v[4:5], v2, off
                                        ; implicit-def: $sgpr0_sgpr1
	s_branch .LBB15_115
.LBB15_113:                             ;   in Loop: Header=BB15_115 Depth=1
	s_or_b64 exec, exec, s[12:13]
.LBB15_114:                             ;   in Loop: Header=BB15_115 Depth=1
	s_or_b64 exec, exec, s[8:9]
	v_and_b32_e32 v8, 0x3fffffff, v20
	v_add_u32_e32 v15, v8, v15
	v_cmp_eq_u32_e64 s[0:1], s15, v2
	s_and_b64 s[8:9], exec, s[0:1]
	s_or_b64 s[4:5], s[8:9], s[4:5]
	s_andn2_b64 exec, exec, s[4:5]
	s_cbranch_execz .LBB15_120
.LBB15_115:                             ; =>This Loop Header: Depth=1
                                        ;     Child Loop BB15_118 Depth 2
	s_or_b64 s[0:1], s[0:1], exec
	s_cmp_eq_u32 s16, 0
	s_cbranch_scc1 .LBB15_119
; %bb.116:                              ;   in Loop: Header=BB15_115 Depth=1
	s_add_i32 s16, s16, -1
	v_lshl_or_b32 v2, s16, 8, v6
	v_lshlrev_b64 v[8:9], 2, v[2:3]
	v_add_co_u32_e64 v8, s[0:1], s34, v8
	v_addc_co_u32_e64 v9, s[0:1], v7, v9, s[0:1]
	global_load_dword v20, v[8:9], off glc
	s_waitcnt vmcnt(0)
	v_and_b32_e32 v2, -2.0, v20
	v_cmp_eq_u32_e64 s[0:1], 0, v2
	s_and_saveexec_b64 s[8:9], s[0:1]
	s_cbranch_execz .LBB15_114
; %bb.117:                              ;   in Loop: Header=BB15_115 Depth=1
	s_mov_b64 s[12:13], 0
.LBB15_118:                             ;   Parent Loop BB15_115 Depth=1
                                        ; =>  This Inner Loop Header: Depth=2
	global_load_dword v20, v[8:9], off glc
	s_waitcnt vmcnt(0)
	v_and_b32_e32 v2, -2.0, v20
	v_cmp_ne_u32_e64 s[0:1], 0, v2
	s_or_b64 s[12:13], s[0:1], s[12:13]
	s_andn2_b64 exec, exec, s[12:13]
	s_cbranch_execnz .LBB15_118
	s_branch .LBB15_113
.LBB15_119:                             ;   in Loop: Header=BB15_115 Depth=1
                                        ; implicit-def: $sgpr16
	s_and_b64 s[8:9], exec, s[0:1]
	s_or_b64 s[4:5], s[8:9], s[4:5]
	s_andn2_b64 exec, exec, s[4:5]
	s_cbranch_execnz .LBB15_115
.LBB15_120:
	s_or_b64 exec, exec, s[4:5]
	v_add_u32_e32 v2, v15, v13
	v_or_b32_e32 v2, 0x80000000, v2
	global_store_dword v[4:5], v2, off
	v_lshlrev_b32_e32 v4, 3, v6
	global_load_dwordx2 v[2:3], v4, s[44:45]
	v_sub_co_u32_e64 v5, s[0:1], v15, v0
	v_subb_co_u32_e64 v8, s[0:1], 0, v1, s[0:1]
	v_mov_b32_e32 v7, 0
	s_waitcnt vmcnt(0)
	v_add_co_u32_e64 v2, s[0:1], v5, v2
	v_addc_co_u32_e64 v3, s[0:1], v8, v3, s[0:1]
	ds_write_b64 v4, v[2:3]
.LBB15_121:
	s_or_b64 exec, exec, s[2:3]
	v_lshlrev_b32_e32 v2, 1, v6
	s_waitcnt lgkmcnt(0)
	s_barrier
	ds_read_u16 v2, v2 offset:2048
	v_lshlrev_b32_e32 v15, 1, v6
	ds_read_u16 v20, v15 offset:4096
	ds_read_u16 v32, v15 offset:8192
	;; [unrolled: 1-line block ×3, first 2 shown]
	v_mov_b32_e32 v8, s39
	v_or_b32_e32 v37, 0x800, v15
	s_waitcnt lgkmcnt(3)
	v_lshrrev_b32_sdwa v3, s48, v2 dst_sel:DWORD dst_unused:UNUSED_PAD src0_sel:DWORD src1_sel:WORD_0
	v_and_b32_e32 v3, s14, v3
	v_xor_b32_e32 v21, -1, v2
	v_lshlrev_b32_e32 v34, 3, v3
	s_waitcnt lgkmcnt(2)
	v_lshrrev_b32_sdwa v2, s48, v20 dst_sel:DWORD dst_unused:UNUSED_PAD src0_sel:DWORD src1_sel:WORD_0
	v_and_b32_e32 v4, s14, v2
	ds_read_b64 v[2:3], v34
	v_lshlrev_b32_e32 v35, 3, v4
	ds_read_u16 v22, v15 offset:6144
	ds_read_b64 v[4:5], v35
	ds_read_u16 v36, v15 offset:10240
	s_waitcnt lgkmcnt(5)
	v_lshrrev_b32_sdwa v24, s48, v32 dst_sel:DWORD dst_unused:UNUSED_PAD src0_sel:DWORD src1_sel:WORD_0
	v_and_b32_e32 v24, s14, v24
	s_waitcnt lgkmcnt(3)
	v_lshlrev_b64 v[2:3], 1, v[2:3]
	v_add_co_u32_e64 v9, s[0:1], s38, v2
	v_addc_co_u32_e64 v23, s[0:1], v8, v3, s[0:1]
	v_lshlrev_b64 v[2:3], 1, v[6:7]
	v_add_co_u32_e64 v8, s[0:1], v9, v2
	v_addc_co_u32_e64 v9, s[0:1], v23, v3, s[0:1]
	s_waitcnt lgkmcnt(1)
	v_lshlrev_b64 v[4:5], 1, v[4:5]
	global_store_short v[8:9], v21, off
	v_mov_b32_e32 v9, s39
	v_add_co_u32_e64 v4, s[0:1], s38, v4
	v_addc_co_u32_e64 v5, s[0:1], v9, v5, s[0:1]
	v_add_co_u32_e64 v2, s[0:1], v4, v2
	v_addc_co_u32_e64 v3, s[0:1], v5, v3, s[0:1]
	s_lshl_b64 s[0:1], s[30:31], 3
	v_xor_b32_e32 v8, -1, v20
	s_add_u32 s0, s40, s0
	global_store_short v[2:3], v8, off offset:2048
	s_addc_u32 s1, s41, s1
	v_lshlrev_b32_e32 v2, 3, v11
	v_mov_b32_e32 v3, s1
	v_add_co_u32_e64 v2, s[0:1], s0, v2
	v_addc_co_u32_e64 v3, s[0:1], 0, v3, s[0:1]
	v_lshlrev_b32_e32 v4, 3, v10
	v_add_co_u32_e64 v2, s[0:1], v2, v4
	v_addc_co_u32_e64 v3, s[0:1], 0, v3, s[0:1]
	v_lshrrev_b32_sdwa v8, s48, v22 dst_sel:DWORD dst_unused:UNUSED_PAD src0_sel:DWORD src1_sel:WORD_0
	global_load_dwordx2 v[4:5], v[2:3], off
	v_and_b32_e32 v15, s14, v8
	global_load_dwordx2 v[8:9], v[2:3], off offset:512
	global_load_dwordx2 v[10:11], v[2:3], off offset:1024
	;; [unrolled: 1-line block ×3, first 2 shown]
	v_xor_b32_e32 v39, -1, v22
	global_load_dwordx2 v[22:23], v[2:3], off offset:2048
	v_lshlrev_b32_e32 v40, 3, v24
	global_load_dwordx2 v[2:3], v[2:3], off offset:2560
	s_waitcnt lgkmcnt(0)
	v_lshrrev_b32_sdwa v24, s48, v36 dst_sel:DWORD dst_unused:UNUSED_PAD src0_sel:DWORD src1_sel:WORD_0
	v_and_b32_e32 v24, s14, v24
	v_lshlrev_b32_e32 v15, 3, v15
	v_lshlrev_b32_e32 v41, 3, v24
	v_lshrrev_b32_sdwa v24, s48, v33 dst_sel:DWORD dst_unused:UNUSED_PAD src0_sel:DWORD src1_sel:WORD_0
	v_and_b32_e32 v26, s14, v24
	ds_read_b64 v[24:25], v15
	v_or_b32_e32 v38, 0x800, v6
	v_mov_b32_e32 v43, s39
	v_lshlrev_b32_e32 v42, 3, v26
	ds_read_b64 v[26:27], v40
	ds_read_b64 v[28:29], v41
	ds_read_b64 v[30:31], v42
	s_waitcnt lgkmcnt(3)
	v_lshlrev_b64 v[24:25], 1, v[24:25]
	v_add_co_u32_e64 v24, s[0:1], s38, v24
	v_addc_co_u32_e64 v25, s[0:1], v43, v25, s[0:1]
	v_lshlrev_b32_e32 v43, 1, v38
	v_add_co_u32_e64 v24, s[0:1], v24, v43
	v_addc_co_u32_e64 v25, s[0:1], 0, v25, s[0:1]
	global_store_short v[24:25], v39, off
	s_waitcnt lgkmcnt(2)
	v_lshlrev_b64 v[24:25], 1, v[26:27]
	v_or_b32_e32 v39, 0xc00, v6
	v_mov_b32_e32 v26, s39
	v_add_co_u32_e64 v24, s[0:1], s38, v24
	v_addc_co_u32_e64 v25, s[0:1], v26, v25, s[0:1]
	v_lshlrev_b32_e32 v26, 1, v39
	v_add_co_u32_e64 v24, s[0:1], v24, v26
	v_xor_b32_e32 v32, -1, v32
	v_addc_co_u32_e64 v25, s[0:1], 0, v25, s[0:1]
	global_store_short v[24:25], v32, off
	s_waitcnt lgkmcnt(1)
	v_lshlrev_b64 v[24:25], 1, v[28:29]
	v_or_b32_e32 v26, 0x1000, v6
	v_mov_b32_e32 v28, s39
	v_add_co_u32_e64 v24, s[0:1], s38, v24
	v_addc_co_u32_e64 v25, s[0:1], v28, v25, s[0:1]
	v_lshlrev_b32_e32 v28, 1, v26
	v_add_co_u32_e64 v24, s[0:1], v24, v28
	v_xor_b32_e32 v27, -1, v36
	;; [unrolled: 11-line block ×3, first 2 shown]
	v_addc_co_u32_e64 v25, s[0:1], 0, v25, s[0:1]
	v_lshlrev_b32_e32 v19, 3, v19
	global_store_short v[24:25], v28, off
	s_barrier
	s_add_i32 s7, s7, -1
	s_cmp_eq_u32 s6, s7
	s_waitcnt vmcnt(9)
	ds_write_b64 v19, v[4:5] offset:2048
	v_lshlrev_b32_e32 v4, 3, v18
	s_waitcnt vmcnt(8)
	ds_write_b64 v4, v[8:9] offset:2048
	v_lshlrev_b32_e32 v4, 3, v17
	s_waitcnt vmcnt(7)
	ds_write_b64 v4, v[10:11] offset:2048
	v_lshlrev_b32_e32 v4, 3, v16
	s_waitcnt vmcnt(6)
	ds_write_b64 v4, v[20:21] offset:2048
	v_lshlrev_b32_e32 v4, 3, v14
	s_waitcnt vmcnt(5)
	ds_write_b64 v4, v[22:23] offset:2048
	v_lshlrev_b32_e32 v4, 3, v12
	s_waitcnt vmcnt(4)
	ds_write_b64 v4, v[2:3] offset:2048
	s_waitcnt lgkmcnt(0)
	s_barrier
	ds_read_b64 v[2:3], v34
	v_mov_b32_e32 v5, s43
	v_lshlrev_b32_e32 v4, 3, v6
	ds_read_b64 v[8:9], v35
	ds_read_b64 v[10:11], v15
	;; [unrolled: 1-line block ×3, first 2 shown]
	v_mov_b32_e32 v22, s43
	s_waitcnt lgkmcnt(3)
	v_lshlrev_b64 v[2:3], 3, v[2:3]
	v_add_co_u32_e64 v12, s[0:1], s42, v2
	v_addc_co_u32_e64 v5, s[0:1], v5, v3, s[0:1]
	v_lshlrev_b64 v[2:3], 3, v[6:7]
	v_add_co_u32_e64 v2, s[0:1], v12, v2
	v_addc_co_u32_e64 v3, s[0:1], v5, v3, s[0:1]
	ds_read_b64 v[4:5], v4 offset:2048
	v_mad_u32_u24 v12, v6, 6, v37
	s_waitcnt lgkmcnt(3)
	v_lshlrev_b64 v[8:9], 3, v[8:9]
	ds_read_b64 v[16:17], v41
	ds_read_b64 v[18:19], v12 offset:40960
	ds_read_b64 v[20:21], v42
	v_add_co_u32_e64 v8, s[0:1], s42, v8
	s_waitcnt lgkmcnt(3)
	global_store_dwordx2 v[2:3], v[4:5], off
	ds_read2st64_b64 v[2:5], v12 offset0:16 offset1:32
	v_addc_co_u32_e64 v9, s[0:1], v22, v9, s[0:1]
	v_mov_b32_e32 v22, 0x2000
	v_lshl_or_b32 v22, v6, 3, v22
	v_add_co_u32_e64 v8, s[0:1], v8, v22
	v_addc_co_u32_e64 v9, s[0:1], 0, v9, s[0:1]
	s_waitcnt lgkmcnt(0)
	global_store_dwordx2 v[8:9], v[2:3], off
	v_lshlrev_b64 v[2:3], 3, v[10:11]
	v_mov_b32_e32 v8, s43
	v_add_co_u32_e64 v2, s[0:1], s42, v2
	v_addc_co_u32_e64 v3, s[0:1], v8, v3, s[0:1]
	v_lshlrev_b32_e32 v8, 3, v38
	v_add_co_u32_e64 v2, s[0:1], v2, v8
	v_addc_co_u32_e64 v3, s[0:1], 0, v3, s[0:1]
	global_store_dwordx2 v[2:3], v[4:5], off
	ds_read2st64_b64 v[2:5], v12 offset0:48 offset1:64
	v_lshlrev_b64 v[8:9], 3, v[14:15]
	v_mov_b32_e32 v10, s43
	v_add_co_u32_e64 v8, s[0:1], s42, v8
	v_addc_co_u32_e64 v9, s[0:1], v10, v9, s[0:1]
	v_lshlrev_b32_e32 v10, 3, v39
	v_add_co_u32_e64 v8, s[0:1], v8, v10
	v_addc_co_u32_e64 v9, s[0:1], 0, v9, s[0:1]
	s_waitcnt lgkmcnt(0)
	global_store_dwordx2 v[8:9], v[2:3], off
	v_lshlrev_b64 v[2:3], 3, v[16:17]
	v_mov_b32_e32 v8, s43
	v_add_co_u32_e64 v2, s[0:1], s42, v2
	v_addc_co_u32_e64 v3, s[0:1], v8, v3, s[0:1]
	v_lshlrev_b32_e32 v8, 3, v26
	v_add_co_u32_e64 v2, s[0:1], v2, v8
	v_addc_co_u32_e64 v3, s[0:1], 0, v3, s[0:1]
	global_store_dwordx2 v[2:3], v[4:5], off
	v_lshlrev_b64 v[2:3], 3, v[20:21]
	v_mov_b32_e32 v4, s43
	v_add_co_u32_e64 v2, s[0:1], s42, v2
	v_addc_co_u32_e64 v3, s[0:1], v4, v3, s[0:1]
	v_lshlrev_b32_e32 v4, 3, v27
	v_add_co_u32_e64 v2, s[0:1], v2, v4
	v_addc_co_u32_e64 v3, s[0:1], 0, v3, s[0:1]
	s_cselect_b64 s[0:1], -1, 0
	s_and_b64 s[2:3], vcc, s[0:1]
	global_store_dwordx2 v[2:3], v[18:19], off
                                        ; implicit-def: $vgpr4_vgpr5
	s_and_saveexec_b64 s[0:1], s[2:3]
; %bb.122:
	v_add_co_u32_e32 v4, vcc, v0, v13
	v_addc_co_u32_e32 v5, vcc, 0, v1, vcc
	s_or_b64 s[10:11], s[10:11], exec
; %bb.123:
	s_or_b64 exec, exec, s[0:1]
.LBB15_124:
	s_and_saveexec_b64 s[0:1], s[10:11]
	s_cbranch_execnz .LBB15_126
; %bb.125:
	s_endpgm
.LBB15_126:
	v_lshlrev_b32_e32 v2, 3, v6
	ds_read_b64 v[2:3], v2
	v_lshlrev_b64 v[0:1], 3, v[6:7]
	v_mov_b32_e32 v6, s47
	v_add_co_u32_e32 v0, vcc, s46, v0
	v_addc_co_u32_e32 v1, vcc, v6, v1, vcc
	s_waitcnt lgkmcnt(0)
	v_add_co_u32_e32 v2, vcc, v2, v4
	v_addc_co_u32_e32 v3, vcc, v3, v5, vcc
	global_store_dwordx2 v[0:1], v[2:3], off
	s_endpgm
.LBB15_127:
	global_load_dwordx2 v[4:5], v[18:19], off
	s_or_b64 exec, exec, s[28:29]
                                        ; implicit-def: $vgpr8_vgpr9
	s_and_saveexec_b64 s[28:29], s[0:1]
	s_cbranch_execz .LBB15_59
.LBB15_128:
	global_load_dwordx2 v[8:9], v[18:19], off offset:512
	s_or_b64 exec, exec, s[28:29]
                                        ; implicit-def: $vgpr10_vgpr11
	s_and_saveexec_b64 s[0:1], s[2:3]
	s_cbranch_execz .LBB15_60
.LBB15_129:
	global_load_dwordx2 v[10:11], v[18:19], off offset:1024
	s_or_b64 exec, exec, s[0:1]
                                        ; implicit-def: $vgpr12_vgpr13
	s_and_saveexec_b64 s[0:1], s[26:27]
	s_cbranch_execz .LBB15_61
.LBB15_130:
	global_load_dwordx2 v[12:13], v[18:19], off offset:1536
	s_or_b64 exec, exec, s[0:1]
                                        ; implicit-def: $vgpr14_vgpr15
	s_and_saveexec_b64 s[0:1], s[8:9]
	s_cbranch_execz .LBB15_62
.LBB15_131:
	global_load_dwordx2 v[14:15], v[18:19], off offset:2048
	s_or_b64 exec, exec, s[0:1]
                                        ; implicit-def: $vgpr16_vgpr17
	s_and_saveexec_b64 s[0:1], s[10:11]
	s_cbranch_execnz .LBB15_63
	s_branch .LBB15_64
.LBB15_132:
	v_lshlrev_b32_e32 v5, 3, v35
	ds_read_b64 v[8:9], v5
	ds_read_b64 v[10:11], v4 offset:2048
	v_mov_b32_e32 v5, s43
	s_waitcnt lgkmcnt(1)
	v_lshlrev_b64 v[8:9], 3, v[8:9]
	v_add_co_u32_e32 v8, vcc, s42, v8
	v_addc_co_u32_e32 v5, vcc, v5, v9, vcc
	v_add_co_u32_e32 v8, vcc, v8, v4
	v_addc_co_u32_e32 v9, vcc, 0, v5, vcc
	s_waitcnt lgkmcnt(0)
	global_store_dwordx2 v[8:9], v[10:11], off
	s_or_b64 exec, exec, s[0:1]
	s_and_saveexec_b64 s[0:1], s[16:17]
	s_cbranch_execz .LBB15_78
.LBB15_133:
	v_lshlrev_b32_e32 v5, 3, v33
	ds_read_b64 v[8:9], v5
	ds_read_b64 v[10:11], v4 offset:10240
	v_mov_b32_e32 v5, s43
	s_waitcnt lgkmcnt(1)
	v_lshlrev_b64 v[8:9], 3, v[8:9]
	v_add_co_u32_e32 v8, vcc, s42, v8
	v_addc_co_u32_e32 v5, vcc, v5, v9, vcc
	v_lshlrev_b32_e32 v9, 3, v22
	v_add_co_u32_e32 v8, vcc, v8, v9
	v_addc_co_u32_e32 v9, vcc, 0, v5, vcc
	s_waitcnt lgkmcnt(0)
	global_store_dwordx2 v[8:9], v[10:11], off
	s_or_b64 exec, exec, s[0:1]
	s_and_saveexec_b64 s[0:1], s[18:19]
	s_cbranch_execz .LBB15_79
.LBB15_134:
	v_lshlrev_b32_e32 v5, 3, v34
	ds_read_b64 v[8:9], v5
	ds_read_b64 v[10:11], v4 offset:18432
	v_mov_b32_e32 v5, s43
	s_waitcnt lgkmcnt(1)
	v_lshlrev_b64 v[8:9], 3, v[8:9]
	v_add_co_u32_e32 v8, vcc, s42, v8
	v_addc_co_u32_e32 v5, vcc, v5, v9, vcc
	v_lshlrev_b32_e32 v9, 3, v28
	v_add_co_u32_e32 v8, vcc, v8, v9
	v_addc_co_u32_e32 v9, vcc, 0, v5, vcc
	s_waitcnt lgkmcnt(0)
	global_store_dwordx2 v[8:9], v[10:11], off
	s_or_b64 exec, exec, s[0:1]
	s_and_saveexec_b64 s[0:1], s[20:21]
	s_cbranch_execz .LBB15_80
.LBB15_135:
	v_lshlrev_b32_e32 v5, 3, v18
	ds_read_b64 v[8:9], v5
	ds_read_b64 v[10:11], v4 offset:26624
	v_mov_b32_e32 v5, s43
	s_waitcnt lgkmcnt(1)
	v_lshlrev_b64 v[8:9], 3, v[8:9]
	v_add_co_u32_e32 v8, vcc, s42, v8
	v_addc_co_u32_e32 v5, vcc, v5, v9, vcc
	v_lshlrev_b32_e32 v9, 3, v29
	v_add_co_u32_e32 v8, vcc, v8, v9
	v_addc_co_u32_e32 v9, vcc, 0, v5, vcc
	s_waitcnt lgkmcnt(0)
	global_store_dwordx2 v[8:9], v[10:11], off
	s_or_b64 exec, exec, s[0:1]
	s_and_saveexec_b64 s[0:1], s[22:23]
	s_cbranch_execz .LBB15_81
.LBB15_136:
	v_lshlrev_b32_e32 v5, 3, v19
	ds_read_b64 v[8:9], v5
	ds_read_b64 v[10:11], v4 offset:34816
	v_mov_b32_e32 v5, s43
	s_waitcnt lgkmcnt(1)
	v_lshlrev_b64 v[8:9], 3, v[8:9]
	v_add_co_u32_e32 v8, vcc, s42, v8
	v_addc_co_u32_e32 v5, vcc, v5, v9, vcc
	v_lshlrev_b32_e32 v9, 3, v30
	v_add_co_u32_e32 v8, vcc, v8, v9
	v_addc_co_u32_e32 v9, vcc, 0, v5, vcc
	s_waitcnt lgkmcnt(0)
	global_store_dwordx2 v[8:9], v[10:11], off
	s_or_b64 exec, exec, s[0:1]
	s_and_saveexec_b64 s[0:1], s[24:25]
	s_cbranch_execnz .LBB15_82
	s_branch .LBB15_83
	.section	.rodata,"a",@progbits
	.p2align	6, 0x0
	.amdhsa_kernel _ZN7rocprim17ROCPRIM_304000_NS6detail25onesweep_iteration_kernelINS1_34wrapped_radix_sort_onesweep_configINS0_14default_configEtN2at4cuda3cub6detail10OpaqueTypeILi8EEEEELb1EPtSC_PSA_SD_mNS0_19identity_decomposerEEEvT1_T2_T3_T4_jPT5_SK_PNS1_23onesweep_lookback_stateET6_jjj
		.amdhsa_group_segment_fixed_size 51200
		.amdhsa_private_segment_fixed_size 0
		.amdhsa_kernarg_size 336
		.amdhsa_user_sgpr_count 6
		.amdhsa_user_sgpr_private_segment_buffer 1
		.amdhsa_user_sgpr_dispatch_ptr 0
		.amdhsa_user_sgpr_queue_ptr 0
		.amdhsa_user_sgpr_kernarg_segment_ptr 1
		.amdhsa_user_sgpr_dispatch_id 0
		.amdhsa_user_sgpr_flat_scratch_init 0
		.amdhsa_user_sgpr_kernarg_preload_length 0
		.amdhsa_user_sgpr_kernarg_preload_offset 0
		.amdhsa_user_sgpr_private_segment_size 0
		.amdhsa_uses_dynamic_stack 0
		.amdhsa_system_sgpr_private_segment_wavefront_offset 0
		.amdhsa_system_sgpr_workgroup_id_x 1
		.amdhsa_system_sgpr_workgroup_id_y 0
		.amdhsa_system_sgpr_workgroup_id_z 0
		.amdhsa_system_sgpr_workgroup_info 0
		.amdhsa_system_vgpr_workitem_id 2
		.amdhsa_next_free_vgpr 44
		.amdhsa_next_free_sgpr 52
		.amdhsa_accum_offset 44
		.amdhsa_reserve_vcc 1
		.amdhsa_reserve_flat_scratch 0
		.amdhsa_float_round_mode_32 0
		.amdhsa_float_round_mode_16_64 0
		.amdhsa_float_denorm_mode_32 3
		.amdhsa_float_denorm_mode_16_64 3
		.amdhsa_dx10_clamp 1
		.amdhsa_ieee_mode 1
		.amdhsa_fp16_overflow 0
		.amdhsa_tg_split 0
		.amdhsa_exception_fp_ieee_invalid_op 0
		.amdhsa_exception_fp_denorm_src 0
		.amdhsa_exception_fp_ieee_div_zero 0
		.amdhsa_exception_fp_ieee_overflow 0
		.amdhsa_exception_fp_ieee_underflow 0
		.amdhsa_exception_fp_ieee_inexact 0
		.amdhsa_exception_int_div_zero 0
	.end_amdhsa_kernel
	.section	.text._ZN7rocprim17ROCPRIM_304000_NS6detail25onesweep_iteration_kernelINS1_34wrapped_radix_sort_onesweep_configINS0_14default_configEtN2at4cuda3cub6detail10OpaqueTypeILi8EEEEELb1EPtSC_PSA_SD_mNS0_19identity_decomposerEEEvT1_T2_T3_T4_jPT5_SK_PNS1_23onesweep_lookback_stateET6_jjj,"axG",@progbits,_ZN7rocprim17ROCPRIM_304000_NS6detail25onesweep_iteration_kernelINS1_34wrapped_radix_sort_onesweep_configINS0_14default_configEtN2at4cuda3cub6detail10OpaqueTypeILi8EEEEELb1EPtSC_PSA_SD_mNS0_19identity_decomposerEEEvT1_T2_T3_T4_jPT5_SK_PNS1_23onesweep_lookback_stateET6_jjj,comdat
.Lfunc_end15:
	.size	_ZN7rocprim17ROCPRIM_304000_NS6detail25onesweep_iteration_kernelINS1_34wrapped_radix_sort_onesweep_configINS0_14default_configEtN2at4cuda3cub6detail10OpaqueTypeILi8EEEEELb1EPtSC_PSA_SD_mNS0_19identity_decomposerEEEvT1_T2_T3_T4_jPT5_SK_PNS1_23onesweep_lookback_stateET6_jjj, .Lfunc_end15-_ZN7rocprim17ROCPRIM_304000_NS6detail25onesweep_iteration_kernelINS1_34wrapped_radix_sort_onesweep_configINS0_14default_configEtN2at4cuda3cub6detail10OpaqueTypeILi8EEEEELb1EPtSC_PSA_SD_mNS0_19identity_decomposerEEEvT1_T2_T3_T4_jPT5_SK_PNS1_23onesweep_lookback_stateET6_jjj
                                        ; -- End function
	.section	.AMDGPU.csdata,"",@progbits
; Kernel info:
; codeLenInByte = 11520
; NumSgprs: 56
; NumVgprs: 44
; NumAgprs: 0
; TotalNumVgprs: 44
; ScratchSize: 0
; MemoryBound: 0
; FloatMode: 240
; IeeeMode: 1
; LDSByteSize: 51200 bytes/workgroup (compile time only)
; SGPRBlocks: 6
; VGPRBlocks: 5
; NumSGPRsForWavesPerEU: 56
; NumVGPRsForWavesPerEU: 44
; AccumOffset: 44
; Occupancy: 4
; WaveLimiterHint : 1
; COMPUTE_PGM_RSRC2:SCRATCH_EN: 0
; COMPUTE_PGM_RSRC2:USER_SGPR: 6
; COMPUTE_PGM_RSRC2:TRAP_HANDLER: 0
; COMPUTE_PGM_RSRC2:TGID_X_EN: 1
; COMPUTE_PGM_RSRC2:TGID_Y_EN: 0
; COMPUTE_PGM_RSRC2:TGID_Z_EN: 0
; COMPUTE_PGM_RSRC2:TIDIG_COMP_CNT: 2
; COMPUTE_PGM_RSRC3_GFX90A:ACCUM_OFFSET: 10
; COMPUTE_PGM_RSRC3_GFX90A:TG_SPLIT: 0
	.section	.text._ZN7rocprim17ROCPRIM_304000_NS6detail28radix_sort_block_sort_kernelINS1_36wrapped_radix_sort_block_sort_configINS0_13kernel_configILj256ELj4ELj4294967295EEEtN2at4cuda3cub6detail10OpaqueTypeILi8EEEEELb0EPKtPtPKSB_PSB_NS0_19identity_decomposerEEEvT1_T2_T3_T4_jT5_jj,"axG",@progbits,_ZN7rocprim17ROCPRIM_304000_NS6detail28radix_sort_block_sort_kernelINS1_36wrapped_radix_sort_block_sort_configINS0_13kernel_configILj256ELj4ELj4294967295EEEtN2at4cuda3cub6detail10OpaqueTypeILi8EEEEELb0EPKtPtPKSB_PSB_NS0_19identity_decomposerEEEvT1_T2_T3_T4_jT5_jj,comdat
	.protected	_ZN7rocprim17ROCPRIM_304000_NS6detail28radix_sort_block_sort_kernelINS1_36wrapped_radix_sort_block_sort_configINS0_13kernel_configILj256ELj4ELj4294967295EEEtN2at4cuda3cub6detail10OpaqueTypeILi8EEEEELb0EPKtPtPKSB_PSB_NS0_19identity_decomposerEEEvT1_T2_T3_T4_jT5_jj ; -- Begin function _ZN7rocprim17ROCPRIM_304000_NS6detail28radix_sort_block_sort_kernelINS1_36wrapped_radix_sort_block_sort_configINS0_13kernel_configILj256ELj4ELj4294967295EEEtN2at4cuda3cub6detail10OpaqueTypeILi8EEEEELb0EPKtPtPKSB_PSB_NS0_19identity_decomposerEEEvT1_T2_T3_T4_jT5_jj
	.globl	_ZN7rocprim17ROCPRIM_304000_NS6detail28radix_sort_block_sort_kernelINS1_36wrapped_radix_sort_block_sort_configINS0_13kernel_configILj256ELj4ELj4294967295EEEtN2at4cuda3cub6detail10OpaqueTypeILi8EEEEELb0EPKtPtPKSB_PSB_NS0_19identity_decomposerEEEvT1_T2_T3_T4_jT5_jj
	.p2align	8
	.type	_ZN7rocprim17ROCPRIM_304000_NS6detail28radix_sort_block_sort_kernelINS1_36wrapped_radix_sort_block_sort_configINS0_13kernel_configILj256ELj4ELj4294967295EEEtN2at4cuda3cub6detail10OpaqueTypeILi8EEEEELb0EPKtPtPKSB_PSB_NS0_19identity_decomposerEEEvT1_T2_T3_T4_jT5_jj,@function
_ZN7rocprim17ROCPRIM_304000_NS6detail28radix_sort_block_sort_kernelINS1_36wrapped_radix_sort_block_sort_configINS0_13kernel_configILj256ELj4ELj4294967295EEEtN2at4cuda3cub6detail10OpaqueTypeILi8EEEEELb0EPKtPtPKSB_PSB_NS0_19identity_decomposerEEEvT1_T2_T3_T4_jT5_jj: ; @_ZN7rocprim17ROCPRIM_304000_NS6detail28radix_sort_block_sort_kernelINS1_36wrapped_radix_sort_block_sort_configINS0_13kernel_configILj256ELj4ELj4294967295EEEtN2at4cuda3cub6detail10OpaqueTypeILi8EEEEELb0EPKtPtPKSB_PSB_NS0_19identity_decomposerEEEvT1_T2_T3_T4_jT5_jj
; %bb.0:
	s_load_dword s2, s[4:5], 0x20
	s_load_dwordx8 s[36:43], s[4:5], 0x0
	s_lshl_b32 s28, s6, 10
	s_mov_b32 s29, 0
	v_mbcnt_lo_u32_b32 v1, -1, 0
	s_waitcnt lgkmcnt(0)
	s_lshr_b32 s0, s2, 10
	s_cmp_lg_u32 s6, s0
	s_cselect_b64 s[30:31], -1, 0
	s_lshl_b64 s[34:35], s[28:29], 1
	v_and_b32_e32 v8, 0x3ff, v0
	s_add_u32 s1, s36, s34
	v_mbcnt_hi_u32_b32 v1, -1, v1
	s_addc_u32 s3, s37, s35
	v_lshlrev_b32_e32 v6, 2, v8
	v_lshlrev_b32_e32 v2, 1, v1
	v_and_b32_e32 v7, 0x300, v6
	v_mov_b32_e32 v3, s3
	v_add_co_u32_e32 v2, vcc, s1, v2
	v_addc_co_u32_e32 v3, vcc, 0, v3, vcc
	v_lshlrev_b32_e32 v4, 1, v7
	v_add_co_u32_e32 v4, vcc, v2, v4
	s_cmp_eq_u32 s6, s0
	v_addc_co_u32_e32 v5, vcc, 0, v3, vcc
	v_lshlrev_b32_e32 v13, 3, v1
	v_lshlrev_b32_e32 v12, 3, v7
	v_add_u32_e32 v9, v1, v7
	s_cbranch_scc1 .LBB16_2
; %bb.1:
	s_lshl_b64 s[0:1], s[28:29], 3
	s_add_u32 s0, s40, s0
	s_addc_u32 s1, s41, s1
	v_mov_b32_e32 v2, s1
	v_add_co_u32_e32 v3, vcc, s0, v13
	v_addc_co_u32_e32 v16, vcc, 0, v2, vcc
	v_add_co_u32_e32 v2, vcc, v3, v12
	v_addc_co_u32_e32 v3, vcc, 0, v16, vcc
	global_load_ushort v10, v[4:5], off
	global_load_ushort v11, v[4:5], off offset:128
	global_load_ushort v14, v[4:5], off offset:256
	;; [unrolled: 1-line block ×3, first 2 shown]
	global_load_dwordx2 v[22:23], v[2:3], off
	global_load_dwordx2 v[24:25], v[2:3], off offset:512
	global_load_dwordx2 v[26:27], v[2:3], off offset:1024
	;; [unrolled: 1-line block ×3, first 2 shown]
	s_mov_b32 s0, 0x5040100
	s_waitcnt vmcnt(6)
	v_perm_b32 v2, v11, v10, s0
	s_waitcnt vmcnt(4)
	v_perm_b32 v3, v15, v14, s0
	v_add_u32_e32 v14, v1, v7
	v_add_u32_e32 v7, 64, v14
	;; [unrolled: 1-line block ×4, first 2 shown]
	s_sub_i32 s33, s2, s28
	s_cbranch_execz .LBB16_3
	s_branch .LBB16_17
.LBB16_2:
                                        ; implicit-def: $vgpr2_vgpr3
                                        ; implicit-def: $vgpr22_vgpr23
                                        ; implicit-def: $vgpr24_vgpr25
                                        ; implicit-def: $vgpr26_vgpr27
                                        ; implicit-def: $vgpr28_vgpr29
                                        ; implicit-def: $vgpr14
                                        ; implicit-def: $vgpr7
                                        ; implicit-def: $vgpr10
                                        ; implicit-def: $vgpr11
	s_sub_i32 s33, s2, s28
.LBB16_3:
	s_mov_b32 s0, -1
	s_mov_b32 s1, s0
	v_cmp_gt_u32_e32 vcc, s33, v9
	v_pk_mov_b32 v[2:3], s[0:1], s[0:1] op_sel:[0,1]
	s_and_saveexec_b64 s[0:1], vcc
	s_cbranch_execz .LBB16_5
; %bb.4:
	global_load_ushort v2, v[4:5], off
	v_mov_b32_e32 v3, 0x5040100
	s_waitcnt vmcnt(0)
	v_perm_b32 v2, -1, v2, v3
	v_mov_b32_e32 v3, -1
.LBB16_5:
	s_or_b64 exec, exec, s[0:1]
	v_add_u32_e32 v7, 64, v9
	v_cmp_gt_u32_e64 s[0:1], s33, v7
	s_and_saveexec_b64 s[2:3], s[0:1]
	s_cbranch_execz .LBB16_7
; %bb.6:
	global_load_ushort v10, v[4:5], off offset:128
	s_mov_b32 s6, 0x5040100
	s_waitcnt vmcnt(0)
	v_perm_b32 v2, v10, v2, s6
.LBB16_7:
	s_or_b64 exec, exec, s[2:3]
	v_add_u32_e32 v10, 0x80, v9
	v_cmp_gt_u32_e64 s[2:3], s33, v10
	s_and_saveexec_b64 s[6:7], s[2:3]
	s_cbranch_execz .LBB16_9
; %bb.8:
	global_load_ushort v11, v[4:5], off offset:256
	s_mov_b32 s8, 0xffff
	s_waitcnt vmcnt(0)
	v_bfi_b32 v3, s8, v11, v3
.LBB16_9:
	s_or_b64 exec, exec, s[6:7]
	v_add_u32_e32 v11, 0xc0, v9
	v_cmp_gt_u32_e64 s[6:7], s33, v11
	s_and_saveexec_b64 s[8:9], s[6:7]
	s_cbranch_execz .LBB16_11
; %bb.10:
	global_load_ushort v4, v[4:5], off offset:384
	s_mov_b32 s10, 0x5040100
	s_waitcnt vmcnt(0)
	v_perm_b32 v3, v4, v3, s10
.LBB16_11:
	s_or_b64 exec, exec, s[8:9]
	s_lshl_b64 s[8:9], s[28:29], 3
	s_add_u32 s8, s40, s8
	s_addc_u32 s9, s41, s9
	v_mov_b32_e32 v4, s9
	v_add_co_u32_e64 v5, s[8:9], s8, v13
	v_addc_co_u32_e64 v13, s[8:9], 0, v4, s[8:9]
	v_add_co_u32_e64 v4, s[8:9], v5, v12
	v_addc_co_u32_e64 v5, s[8:9], 0, v13, s[8:9]
                                        ; implicit-def: $vgpr22_vgpr23
	s_and_saveexec_b64 s[8:9], vcc
	s_cbranch_execnz .LBB16_54
; %bb.12:
	s_or_b64 exec, exec, s[8:9]
                                        ; implicit-def: $vgpr24_vgpr25
	s_and_saveexec_b64 s[8:9], s[0:1]
	s_cbranch_execnz .LBB16_55
.LBB16_13:
	s_or_b64 exec, exec, s[8:9]
                                        ; implicit-def: $vgpr26_vgpr27
	s_and_saveexec_b64 s[0:1], s[2:3]
	s_cbranch_execnz .LBB16_56
.LBB16_14:
	s_or_b64 exec, exec, s[0:1]
                                        ; implicit-def: $vgpr28_vgpr29
	s_and_saveexec_b64 s[0:1], s[6:7]
	s_cbranch_execz .LBB16_16
.LBB16_15:
	global_load_dwordx2 v[28:29], v[4:5], off offset:1536
.LBB16_16:
	s_or_b64 exec, exec, s[0:1]
	v_mov_b32_e32 v14, v9
.LBB16_17:
	s_load_dwordx2 s[36:37], s[4:5], 0x28
	s_load_dword s0, s[4:5], 0x3c
	v_bfe_u32 v4, v0, 10, 10
	v_bfe_u32 v0, v0, 20, 10
	s_mov_b32 s26, 0
	v_cmp_lt_u32_e64 s[10:11], 31, v1
	s_waitcnt lgkmcnt(0)
	s_lshr_b32 s1, s0, 16
	s_and_b32 s0, s0, 0xffff
	v_mad_u32_u24 v0, v0, s1, v4
	v_mad_u64_u32 v[4:5], s[0:1], v0, s0, v[8:9]
	v_and_b32_e32 v0, 15, v1
	v_cmp_eq_u32_e64 s[0:1], 0, v0
	v_cmp_lt_u32_e64 s[2:3], 1, v0
	v_cmp_lt_u32_e64 s[4:5], 3, v0
	;; [unrolled: 1-line block ×3, first 2 shown]
	v_and_b32_e32 v0, 16, v1
	v_cmp_eq_u32_e64 s[8:9], 0, v0
	v_and_b32_e32 v0, 0x3c0, v8
	v_min_u32_e32 v0, 0xc0, v0
	v_or_b32_e32 v0, 63, v0
	v_lshrrev_b32_e32 v31, 6, v4
	v_cmp_eq_u32_e64 s[12:13], v0, v8
	v_add_u32_e32 v0, -1, v1
	v_and_b32_e32 v4, 64, v1
	v_cmp_lt_i32_e32 vcc, v0, v4
	v_cndmask_b32_e32 v0, v0, v1, vcc
	v_lshlrev_b32_e32 v33, 2, v0
	v_cmp_eq_u32_e64 s[18:19], 0, v1
	v_lshrrev_b32_e32 v0, 4, v8
	v_and_b32_e32 v1, 3, v1
	v_lshlrev_b32_e32 v9, 2, v6
	v_and_b32_e32 v35, 60, v0
	v_mul_i32_i24_e32 v0, -12, v8
	v_cmp_eq_u32_e64 s[22:23], 0, v1
	v_cmp_lt_u32_e64 s[24:25], 1, v1
	v_lshlrev_b32_e32 v37, 1, v14
	v_lshlrev_b32_e32 v38, 1, v7
	;; [unrolled: 1-line block ×4, first 2 shown]
	v_mul_lo_u32 v1, v14, 6
	v_mul_lo_u32 v4, v7, 6
	;; [unrolled: 1-line block ×4, first 2 shown]
	s_mov_b32 s27, s26
	s_mov_b32 s44, s26
	;; [unrolled: 1-line block ×3, first 2 shown]
	s_add_i32 s40, s37, s36
	v_cmp_gt_u32_e64 s[14:15], 4, v8
	v_cmp_lt_u32_e64 s[16:17], 63, v8
	v_cmp_eq_u32_e64 s[20:21], 0, v8
	v_add_u32_e32 v36, -4, v35
	v_pk_mov_b32 v[14:15], s[26:27], s[26:27] op_sel:[0,1]
	v_pk_mov_b32 v[16:17], s[44:45], s[44:45] op_sel:[0,1]
	v_add_u32_e32 v41, v9, v0
	s_mov_b32 s41, 0x5040100
	v_add_u32_e32 v42, v37, v1
	v_add_u32_e32 v43, v38, v4
	v_add_u32_e32 v44, v39, v5
	v_add_u32_e32 v45, v40, v6
	v_mov_b32_e32 v18, 0
	s_branch .LBB16_19
.LBB16_18:                              ;   in Loop: Header=BB16_19 Depth=1
	s_barrier
	ds_write_b16 v34, v20
	ds_write_b16 v32, v46
	;; [unrolled: 1-line block ×4, first 2 shown]
	s_waitcnt lgkmcnt(0)
	s_barrier
	ds_read_u16 v2, v39
	ds_read_u16 v3, v40
	;; [unrolled: 1-line block ×4, first 2 shown]
	s_waitcnt lgkmcnt(0)
	s_barrier
	v_perm_b32 v3, v3, v2, s41
	v_perm_b32 v2, v23, v22, s41
	v_mad_u64_u32 v[22:23], s[26:27], v49, 6, v[34:35]
	ds_write_b64 v22, v[12:13]
	v_mad_u64_u32 v[22:23], s[26:27], v48, 6, v[32:33]
	ds_write_b64 v22, v[10:11]
	;; [unrolled: 2-line block ×4, first 2 shown]
	s_waitcnt lgkmcnt(0)
	s_barrier
	ds_read_b64 v[22:23], v42
	ds_read_b64 v[24:25], v43
	;; [unrolled: 1-line block ×4, first 2 shown]
	s_add_i32 s37, s37, -8
	s_waitcnt lgkmcnt(0)
	s_barrier
	s_cbranch_execz .LBB16_35
.LBB16_19:                              ; =>This Inner Loop Header: Depth=1
	s_min_u32 s26, s37, 8
	v_pk_mov_b32 v[20:21], v[2:3], v[2:3] op_sel:[0,1]
	s_lshl_b32 s26, -1, s26
	s_not_b32 s44, s26
	v_lshrrev_b32_sdwa v0, s36, v20 dst_sel:DWORD dst_unused:UNUSED_PAD src0_sel:DWORD src1_sel:WORD_0
	v_and_b32_e32 v0, s44, v0
	v_lshl_add_u32 v1, v0, 2, v31
	s_waitcnt vmcnt(0)
	v_pk_mov_b32 v[12:13], v[22:23], v[22:23] op_sel:[0,1]
	v_lshl_add_u32 v22, v1, 2, 16
	v_and_b32_e32 v1, 1, v0
	v_add_co_u32_e32 v2, vcc, -1, v1
	v_addc_co_u32_e64 v3, s[26:27], 0, -1, vcc
	v_cmp_ne_u32_e32 vcc, 0, v1
	v_lshlrev_b32_e32 v19, 30, v0
	v_xor_b32_e32 v1, vcc_hi, v3
	v_not_b32_e32 v3, v19
	v_xor_b32_e32 v2, vcc_lo, v2
	v_cmp_gt_i64_e32 vcc, 0, v[18:19]
	v_ashrrev_i32_e32 v3, 31, v3
	v_and_b32_e32 v1, exec_hi, v1
	v_xor_b32_e32 v19, vcc_hi, v3
	v_and_b32_e32 v2, exec_lo, v2
	v_xor_b32_e32 v3, vcc_lo, v3
	v_and_b32_e32 v1, v1, v19
	v_lshlrev_b32_e32 v19, 29, v0
	v_and_b32_e32 v2, v2, v3
	v_not_b32_e32 v3, v19
	v_cmp_gt_i64_e32 vcc, 0, v[18:19]
	v_ashrrev_i32_e32 v3, 31, v3
	v_xor_b32_e32 v19, vcc_hi, v3
	v_xor_b32_e32 v3, vcc_lo, v3
	v_and_b32_e32 v1, v1, v19
	v_lshlrev_b32_e32 v19, 28, v0
	v_and_b32_e32 v2, v2, v3
	v_not_b32_e32 v3, v19
	v_cmp_gt_i64_e32 vcc, 0, v[18:19]
	v_ashrrev_i32_e32 v3, 31, v3
	v_xor_b32_e32 v19, vcc_hi, v3
	;; [unrolled: 8-line block ×5, first 2 shown]
	v_and_b32_e32 v1, v1, v19
	v_lshlrev_b32_e32 v19, 24, v0
	v_not_b32_e32 v0, v19
	v_xor_b32_e32 v3, vcc_lo, v3
	v_cmp_gt_i64_e32 vcc, 0, v[18:19]
	v_ashrrev_i32_e32 v0, 31, v0
	v_and_b32_e32 v2, v2, v3
	v_xor_b32_e32 v3, vcc_hi, v0
	v_xor_b32_e32 v0, vcc_lo, v0
	v_and_b32_e32 v0, v2, v0
	v_and_b32_e32 v1, v1, v3
	v_mbcnt_lo_u32_b32 v2, v0, 0
	v_mbcnt_hi_u32_b32 v23, v1, v2
	v_cmp_eq_u32_e32 vcc, 0, v23
	v_cmp_ne_u64_e64 s[26:27], 0, v[0:1]
	v_pk_mov_b32 v[10:11], v[24:25], v[24:25] op_sel:[0,1]
	v_pk_mov_b32 v[6:7], v[26:27], v[26:27] op_sel:[0,1]
	v_pk_mov_b32 v[4:5], v[28:29], v[28:29] op_sel:[0,1]
	s_and_b64 s[46:47], s[26:27], vcc
	ds_write2_b64 v9, v[14:15], v[16:17] offset0:2 offset1:3
	s_waitcnt lgkmcnt(0)
	s_barrier
	s_waitcnt lgkmcnt(0)
	; wave barrier
	s_and_saveexec_b64 s[26:27], s[46:47]
	s_cbranch_execz .LBB16_21
; %bb.20:                               ;   in Loop: Header=BB16_19 Depth=1
	v_bcnt_u32_b32 v0, v0, 0
	v_bcnt_u32_b32 v0, v1, v0
	ds_write_b32 v22, v0
.LBB16_21:                              ;   in Loop: Header=BB16_19 Depth=1
	s_or_b64 exec, exec, s[26:27]
	v_lshrrev_b32_e32 v46, 16, v20
	v_lshrrev_b32_e32 v0, s36, v46
	v_and_b32_e32 v0, s44, v0
	v_lshlrev_b32_e32 v1, 2, v0
	v_add_lshl_u32 v1, v1, v31, 2
	; wave barrier
	v_add_u32_e32 v25, 16, v1
	ds_read_b32 v24, v1 offset:16
	v_and_b32_e32 v1, 1, v0
	v_add_co_u32_e32 v2, vcc, -1, v1
	v_addc_co_u32_e64 v3, s[26:27], 0, -1, vcc
	v_cmp_ne_u32_e32 vcc, 0, v1
	v_lshlrev_b32_e32 v19, 30, v0
	v_xor_b32_e32 v1, vcc_hi, v3
	v_not_b32_e32 v3, v19
	v_xor_b32_e32 v2, vcc_lo, v2
	v_cmp_gt_i64_e32 vcc, 0, v[18:19]
	v_ashrrev_i32_e32 v3, 31, v3
	v_and_b32_e32 v1, exec_hi, v1
	v_xor_b32_e32 v19, vcc_hi, v3
	v_and_b32_e32 v2, exec_lo, v2
	v_xor_b32_e32 v3, vcc_lo, v3
	v_and_b32_e32 v1, v1, v19
	v_lshlrev_b32_e32 v19, 29, v0
	v_and_b32_e32 v2, v2, v3
	v_not_b32_e32 v3, v19
	v_cmp_gt_i64_e32 vcc, 0, v[18:19]
	v_ashrrev_i32_e32 v3, 31, v3
	v_xor_b32_e32 v19, vcc_hi, v3
	v_xor_b32_e32 v3, vcc_lo, v3
	v_and_b32_e32 v1, v1, v19
	v_lshlrev_b32_e32 v19, 28, v0
	v_and_b32_e32 v2, v2, v3
	v_not_b32_e32 v3, v19
	v_cmp_gt_i64_e32 vcc, 0, v[18:19]
	v_ashrrev_i32_e32 v3, 31, v3
	v_xor_b32_e32 v19, vcc_hi, v3
	;; [unrolled: 8-line block ×5, first 2 shown]
	v_and_b32_e32 v1, v1, v19
	v_lshlrev_b32_e32 v19, 24, v0
	v_not_b32_e32 v0, v19
	v_xor_b32_e32 v3, vcc_lo, v3
	v_cmp_gt_i64_e32 vcc, 0, v[18:19]
	v_ashrrev_i32_e32 v0, 31, v0
	v_and_b32_e32 v2, v2, v3
	v_xor_b32_e32 v3, vcc_hi, v0
	v_xor_b32_e32 v0, vcc_lo, v0
	v_and_b32_e32 v0, v2, v0
	v_and_b32_e32 v1, v1, v3
	v_mbcnt_lo_u32_b32 v2, v0, 0
	v_mbcnt_hi_u32_b32 v26, v1, v2
	v_cmp_eq_u32_e32 vcc, 0, v26
	v_cmp_ne_u64_e64 s[26:27], 0, v[0:1]
	s_and_b64 s[46:47], s[26:27], vcc
	; wave barrier
	s_and_saveexec_b64 s[26:27], s[46:47]
	s_cbranch_execz .LBB16_23
; %bb.22:                               ;   in Loop: Header=BB16_19 Depth=1
	v_bcnt_u32_b32 v0, v0, 0
	v_bcnt_u32_b32 v0, v1, v0
	s_waitcnt lgkmcnt(0)
	v_add_u32_e32 v0, v24, v0
	ds_write_b32 v25, v0
.LBB16_23:                              ;   in Loop: Header=BB16_19 Depth=1
	s_or_b64 exec, exec, s[26:27]
	v_lshrrev_b32_sdwa v0, s36, v21 dst_sel:DWORD dst_unused:UNUSED_PAD src0_sel:DWORD src1_sel:WORD_0
	v_and_b32_e32 v0, s44, v0
	v_lshlrev_b32_e32 v1, 2, v0
	v_add_lshl_u32 v1, v1, v31, 2
	; wave barrier
	v_add_u32_e32 v28, 16, v1
	ds_read_b32 v27, v1 offset:16
	v_and_b32_e32 v1, 1, v0
	v_add_co_u32_e32 v2, vcc, -1, v1
	v_addc_co_u32_e64 v3, s[26:27], 0, -1, vcc
	v_cmp_ne_u32_e32 vcc, 0, v1
	v_lshlrev_b32_e32 v19, 30, v0
	v_xor_b32_e32 v1, vcc_hi, v3
	v_not_b32_e32 v3, v19
	v_xor_b32_e32 v2, vcc_lo, v2
	v_cmp_gt_i64_e32 vcc, 0, v[18:19]
	v_ashrrev_i32_e32 v3, 31, v3
	v_and_b32_e32 v1, exec_hi, v1
	v_xor_b32_e32 v19, vcc_hi, v3
	v_and_b32_e32 v2, exec_lo, v2
	v_xor_b32_e32 v3, vcc_lo, v3
	v_and_b32_e32 v1, v1, v19
	v_lshlrev_b32_e32 v19, 29, v0
	v_and_b32_e32 v2, v2, v3
	v_not_b32_e32 v3, v19
	v_cmp_gt_i64_e32 vcc, 0, v[18:19]
	v_ashrrev_i32_e32 v3, 31, v3
	v_xor_b32_e32 v19, vcc_hi, v3
	v_xor_b32_e32 v3, vcc_lo, v3
	v_and_b32_e32 v1, v1, v19
	v_lshlrev_b32_e32 v19, 28, v0
	v_and_b32_e32 v2, v2, v3
	v_not_b32_e32 v3, v19
	v_cmp_gt_i64_e32 vcc, 0, v[18:19]
	v_ashrrev_i32_e32 v3, 31, v3
	v_xor_b32_e32 v19, vcc_hi, v3
	v_xor_b32_e32 v3, vcc_lo, v3
	v_and_b32_e32 v1, v1, v19
	v_lshlrev_b32_e32 v19, 27, v0
	v_and_b32_e32 v2, v2, v3
	v_not_b32_e32 v3, v19
	v_cmp_gt_i64_e32 vcc, 0, v[18:19]
	v_ashrrev_i32_e32 v3, 31, v3
	v_xor_b32_e32 v19, vcc_hi, v3
	v_xor_b32_e32 v3, vcc_lo, v3
	v_and_b32_e32 v1, v1, v19
	v_lshlrev_b32_e32 v19, 26, v0
	v_and_b32_e32 v2, v2, v3
	v_not_b32_e32 v3, v19
	v_cmp_gt_i64_e32 vcc, 0, v[18:19]
	v_ashrrev_i32_e32 v3, 31, v3
	v_xor_b32_e32 v19, vcc_hi, v3
	v_xor_b32_e32 v3, vcc_lo, v3
	v_and_b32_e32 v1, v1, v19
	v_lshlrev_b32_e32 v19, 25, v0
	v_and_b32_e32 v2, v2, v3
	v_not_b32_e32 v3, v19
	v_cmp_gt_i64_e32 vcc, 0, v[18:19]
	v_ashrrev_i32_e32 v3, 31, v3
	v_xor_b32_e32 v19, vcc_hi, v3
	v_and_b32_e32 v1, v1, v19
	v_lshlrev_b32_e32 v19, 24, v0
	v_not_b32_e32 v0, v19
	v_xor_b32_e32 v3, vcc_lo, v3
	v_cmp_gt_i64_e32 vcc, 0, v[18:19]
	v_ashrrev_i32_e32 v0, 31, v0
	v_and_b32_e32 v2, v2, v3
	v_xor_b32_e32 v3, vcc_hi, v0
	v_xor_b32_e32 v0, vcc_lo, v0
	v_and_b32_e32 v0, v2, v0
	v_and_b32_e32 v1, v1, v3
	v_mbcnt_lo_u32_b32 v2, v0, 0
	v_mbcnt_hi_u32_b32 v29, v1, v2
	v_cmp_eq_u32_e32 vcc, 0, v29
	v_cmp_ne_u64_e64 s[26:27], 0, v[0:1]
	s_and_b64 s[46:47], s[26:27], vcc
	; wave barrier
	s_and_saveexec_b64 s[26:27], s[46:47]
	s_cbranch_execz .LBB16_25
; %bb.24:                               ;   in Loop: Header=BB16_19 Depth=1
	v_bcnt_u32_b32 v0, v0, 0
	v_bcnt_u32_b32 v0, v1, v0
	s_waitcnt lgkmcnt(0)
	v_add_u32_e32 v0, v27, v0
	ds_write_b32 v28, v0
.LBB16_25:                              ;   in Loop: Header=BB16_19 Depth=1
	s_or_b64 exec, exec, s[26:27]
	v_lshrrev_b32_e32 v47, 16, v21
	v_lshrrev_b32_e32 v0, s36, v47
	v_and_b32_e32 v0, s44, v0
	v_lshlrev_b32_e32 v1, 2, v0
	v_add_lshl_u32 v1, v1, v31, 2
	; wave barrier
	v_add_u32_e32 v32, 16, v1
	ds_read_b32 v30, v1 offset:16
	v_and_b32_e32 v1, 1, v0
	v_add_co_u32_e32 v2, vcc, -1, v1
	v_addc_co_u32_e64 v3, s[26:27], 0, -1, vcc
	v_cmp_ne_u32_e32 vcc, 0, v1
	v_lshlrev_b32_e32 v19, 30, v0
	v_xor_b32_e32 v1, vcc_hi, v3
	v_not_b32_e32 v3, v19
	v_xor_b32_e32 v2, vcc_lo, v2
	v_cmp_gt_i64_e32 vcc, 0, v[18:19]
	v_ashrrev_i32_e32 v3, 31, v3
	v_and_b32_e32 v1, exec_hi, v1
	v_xor_b32_e32 v19, vcc_hi, v3
	v_and_b32_e32 v2, exec_lo, v2
	v_xor_b32_e32 v3, vcc_lo, v3
	v_and_b32_e32 v1, v1, v19
	v_lshlrev_b32_e32 v19, 29, v0
	v_and_b32_e32 v2, v2, v3
	v_not_b32_e32 v3, v19
	v_cmp_gt_i64_e32 vcc, 0, v[18:19]
	v_ashrrev_i32_e32 v3, 31, v3
	v_xor_b32_e32 v19, vcc_hi, v3
	v_xor_b32_e32 v3, vcc_lo, v3
	v_and_b32_e32 v1, v1, v19
	v_lshlrev_b32_e32 v19, 28, v0
	v_and_b32_e32 v2, v2, v3
	v_not_b32_e32 v3, v19
	v_cmp_gt_i64_e32 vcc, 0, v[18:19]
	v_ashrrev_i32_e32 v3, 31, v3
	v_xor_b32_e32 v19, vcc_hi, v3
	;; [unrolled: 8-line block ×5, first 2 shown]
	v_and_b32_e32 v1, v1, v19
	v_lshlrev_b32_e32 v19, 24, v0
	v_not_b32_e32 v0, v19
	v_xor_b32_e32 v3, vcc_lo, v3
	v_cmp_gt_i64_e32 vcc, 0, v[18:19]
	v_ashrrev_i32_e32 v0, 31, v0
	v_and_b32_e32 v2, v2, v3
	v_xor_b32_e32 v3, vcc_hi, v0
	v_xor_b32_e32 v0, vcc_lo, v0
	v_and_b32_e32 v0, v2, v0
	v_and_b32_e32 v1, v1, v3
	v_mbcnt_lo_u32_b32 v2, v0, 0
	v_mbcnt_hi_u32_b32 v34, v1, v2
	v_cmp_eq_u32_e32 vcc, 0, v34
	v_cmp_ne_u64_e64 s[26:27], 0, v[0:1]
	s_and_b64 s[44:45], s[26:27], vcc
	; wave barrier
	s_and_saveexec_b64 s[26:27], s[44:45]
	s_cbranch_execz .LBB16_27
; %bb.26:                               ;   in Loop: Header=BB16_19 Depth=1
	v_bcnt_u32_b32 v0, v0, 0
	v_bcnt_u32_b32 v0, v1, v0
	s_waitcnt lgkmcnt(0)
	v_add_u32_e32 v0, v30, v0
	ds_write_b32 v32, v0
.LBB16_27:                              ;   in Loop: Header=BB16_19 Depth=1
	s_or_b64 exec, exec, s[26:27]
	; wave barrier
	s_waitcnt lgkmcnt(0)
	s_barrier
	ds_read2_b64 v[0:3], v9 offset0:2 offset1:3
	s_waitcnt lgkmcnt(0)
	v_add_u32_e32 v19, v1, v0
	v_add3_u32 v3, v19, v2, v3
	s_nop 1
	v_mov_b32_dpp v19, v3 row_shr:1 row_mask:0xf bank_mask:0xf
	v_cndmask_b32_e64 v19, v19, 0, s[0:1]
	v_add_u32_e32 v3, v19, v3
	s_nop 1
	v_mov_b32_dpp v19, v3 row_shr:2 row_mask:0xf bank_mask:0xf
	v_cndmask_b32_e64 v19, 0, v19, s[2:3]
	v_add_u32_e32 v3, v3, v19
	;; [unrolled: 4-line block ×4, first 2 shown]
	s_nop 1
	v_mov_b32_dpp v19, v3 row_bcast:15 row_mask:0xf bank_mask:0xf
	v_cndmask_b32_e64 v19, v19, 0, s[8:9]
	v_add_u32_e32 v3, v3, v19
	s_nop 1
	v_mov_b32_dpp v19, v3 row_bcast:31 row_mask:0xf bank_mask:0xf
	v_cndmask_b32_e64 v19, 0, v19, s[10:11]
	v_add_u32_e32 v3, v3, v19
	s_and_saveexec_b64 s[26:27], s[12:13]
	s_cbranch_execz .LBB16_29
; %bb.28:                               ;   in Loop: Header=BB16_19 Depth=1
	ds_write_b32 v35, v3
.LBB16_29:                              ;   in Loop: Header=BB16_19 Depth=1
	s_or_b64 exec, exec, s[26:27]
	s_waitcnt lgkmcnt(0)
	s_barrier
	s_and_saveexec_b64 s[26:27], s[14:15]
	s_cbranch_execz .LBB16_31
; %bb.30:                               ;   in Loop: Header=BB16_19 Depth=1
	ds_read_b32 v19, v41
	s_waitcnt lgkmcnt(0)
	s_nop 0
	v_mov_b32_dpp v48, v19 row_shr:1 row_mask:0xf bank_mask:0xf
	v_cndmask_b32_e64 v48, v48, 0, s[22:23]
	v_add_u32_e32 v19, v48, v19
	s_nop 1
	v_mov_b32_dpp v48, v19 row_shr:2 row_mask:0xf bank_mask:0xf
	v_cndmask_b32_e64 v48, 0, v48, s[24:25]
	v_add_u32_e32 v19, v19, v48
	ds_write_b32 v41, v19
.LBB16_31:                              ;   in Loop: Header=BB16_19 Depth=1
	s_or_b64 exec, exec, s[26:27]
	v_mov_b32_e32 v19, 0
	s_waitcnt lgkmcnt(0)
	s_barrier
	s_and_saveexec_b64 s[26:27], s[16:17]
	s_cbranch_execz .LBB16_33
; %bb.32:                               ;   in Loop: Header=BB16_19 Depth=1
	ds_read_b32 v19, v36
.LBB16_33:                              ;   in Loop: Header=BB16_19 Depth=1
	s_or_b64 exec, exec, s[26:27]
	s_waitcnt lgkmcnt(0)
	v_add_u32_e32 v3, v19, v3
	ds_bpermute_b32 v3, v33, v3
	s_add_i32 s36, s36, 8
	s_cmp_ge_u32 s36, s40
	s_waitcnt lgkmcnt(0)
	v_cndmask_b32_e64 v3, v3, v19, s[18:19]
	v_cndmask_b32_e64 v48, v3, 0, s[20:21]
	v_add_u32_e32 v49, v48, v0
	v_add_u32_e32 v0, v49, v1
	;; [unrolled: 1-line block ×3, first 2 shown]
	ds_write2_b64 v9, v[48:49], v[0:1] offset0:2 offset1:3
	s_waitcnt lgkmcnt(0)
	s_barrier
	ds_read_b32 v0, v22
	ds_read_b32 v1, v25
	;; [unrolled: 1-line block ×4, first 2 shown]
	s_waitcnt lgkmcnt(0)
	v_add_u32_e32 v49, v0, v23
	v_add3_u32 v48, v26, v24, v1
	v_add3_u32 v19, v29, v27, v2
	;; [unrolled: 1-line block ×3, first 2 shown]
	v_lshlrev_b32_e32 v34, 1, v49
	v_lshlrev_b32_e32 v32, 1, v48
	;; [unrolled: 1-line block ×4, first 2 shown]
	s_cbranch_scc0 .LBB16_18
; %bb.34:
                                        ; implicit-def: $sgpr36
                                        ; implicit-def: $vgpr2_vgpr3
                                        ; implicit-def: $vgpr22_vgpr23
                                        ; implicit-def: $vgpr24_vgpr25
                                        ; implicit-def: $vgpr26_vgpr27
                                        ; implicit-def: $vgpr28_vgpr29
.LBB16_35:
	v_lshlrev_b32_e32 v17, 1, v8
	v_mad_u64_u32 v[2:3], s[0:1], v49, 6, v[34:35]
	s_barrier
	ds_write_b16 v34, v20
	ds_write_b16 v32, v46
	;; [unrolled: 1-line block ×4, first 2 shown]
	s_waitcnt lgkmcnt(0)
	s_barrier
	ds_read_u16 v16, v17
	ds_read_u16 v15, v17 offset:512
	ds_read_u16 v14, v17 offset:1024
	;; [unrolled: 1-line block ×3, first 2 shown]
	s_waitcnt lgkmcnt(0)
	s_barrier
	ds_write_b64 v2, v[12:13]
	v_mad_u64_u32 v[2:3], s[0:1], v48, 6, v[32:33]
	ds_write_b64 v2, v[10:11]
	v_mad_u64_u32 v[2:3], s[0:1], v19, 6, v[30:31]
	v_mad_u64_u32 v[0:1], s[0:1], v1, 6, v[0:1]
	ds_write_b64 v2, v[6:7]
	ds_write_b64 v0, v[4:5]
	v_mad_u32_u24 v0, v8, 6, v17
	s_waitcnt lgkmcnt(0)
	s_barrier
	ds_read2st64_b64 v[4:7], v0 offset1:4
	ds_read2st64_b64 v[0:3], v0 offset0:8 offset1:12
	s_add_u32 s0, s38, s34
	s_addc_u32 s1, s39, s35
	v_mov_b32_e32 v11, s1
	v_add_co_u32_e32 v10, vcc, s0, v17
	v_addc_co_u32_e32 v11, vcc, 0, v11, vcc
	s_andn2_b64 vcc, exec, s[30:31]
	v_lshlrev_b32_e32 v12, 3, v8
	s_cbranch_vccnz .LBB16_37
; %bb.36:
	s_lshl_b64 s[0:1], s[28:29], 3
	s_add_u32 s0, s42, s0
	s_addc_u32 s1, s43, s1
	v_mov_b32_e32 v13, s1
	v_add_co_u32_e32 v17, vcc, s0, v12
	v_addc_co_u32_e32 v13, vcc, 0, v13, vcc
	v_add_co_u32_e32 v18, vcc, 0x1000, v17
	global_store_short v[10:11], v16, off
	global_store_short v[10:11], v15, off offset:512
	global_store_short v[10:11], v14, off offset:1024
	;; [unrolled: 1-line block ×3, first 2 shown]
	s_waitcnt lgkmcnt(1)
	global_store_dwordx2 v12, v[4:5], s[0:1]
	global_store_dwordx2 v12, v[6:7], s[0:1] offset:2048
	v_addc_co_u32_e32 v19, vcc, 0, v13, vcc
	s_mov_b64 s[6:7], -1
	s_waitcnt lgkmcnt(0)
	global_store_dwordx2 v[18:19], v[0:1], off
	s_cbranch_execz .LBB16_38
	s_branch .LBB16_51
.LBB16_37:
	s_mov_b64 s[6:7], 0
.LBB16_38:
	v_cmp_gt_u32_e32 vcc, s33, v8
	s_and_saveexec_b64 s[0:1], vcc
	s_cbranch_execz .LBB16_40
; %bb.39:
	global_store_short v[10:11], v16, off
.LBB16_40:
	s_or_b64 exec, exec, s[0:1]
	v_add_u32_e32 v13, 0x100, v8
	v_cmp_gt_u32_e64 s[0:1], s33, v13
	s_and_saveexec_b64 s[2:3], s[0:1]
	s_cbranch_execz .LBB16_42
; %bb.41:
	global_store_short v[10:11], v15, off offset:512
.LBB16_42:
	s_or_b64 exec, exec, s[2:3]
	v_add_u32_e32 v13, 0x200, v8
	v_cmp_gt_u32_e64 s[2:3], s33, v13
	s_and_saveexec_b64 s[4:5], s[2:3]
	s_cbranch_execz .LBB16_44
; %bb.43:
	global_store_short v[10:11], v14, off offset:1024
.LBB16_44:
	;; [unrolled: 8-line block ×3, first 2 shown]
	s_or_b64 exec, exec, s[4:5]
	s_lshl_b64 s[4:5], s[28:29], 3
	s_add_u32 s4, s42, s4
	s_addc_u32 s5, s43, s5
	v_mov_b32_e32 v9, s5
	v_add_co_u32_e64 v8, s[4:5], s4, v12
	v_addc_co_u32_e64 v9, s[4:5], 0, v9, s[4:5]
	s_and_saveexec_b64 s[4:5], vcc
	s_cbranch_execnz .LBB16_57
; %bb.47:
	s_or_b64 exec, exec, s[4:5]
	s_and_saveexec_b64 s[4:5], s[0:1]
	s_cbranch_execnz .LBB16_58
.LBB16_48:
	s_or_b64 exec, exec, s[4:5]
	s_and_saveexec_b64 s[0:1], s[2:3]
	s_cbranch_execz .LBB16_50
.LBB16_49:
	s_waitcnt lgkmcnt(1)
	v_add_co_u32_e32 v4, vcc, 0x1000, v8
	v_addc_co_u32_e32 v5, vcc, 0, v9, vcc
	s_waitcnt lgkmcnt(0)
	global_store_dwordx2 v[4:5], v[0:1], off
.LBB16_50:
	s_or_b64 exec, exec, s[0:1]
.LBB16_51:
	s_and_saveexec_b64 s[0:1], s[6:7]
	s_cbranch_execnz .LBB16_53
; %bb.52:
	s_endpgm
.LBB16_53:
	s_lshl_b64 s[0:1], s[28:29], 3
	s_add_u32 s0, s42, s0
	s_addc_u32 s1, s43, s1
	s_waitcnt lgkmcnt(0)
	v_mov_b32_e32 v0, s1
	v_add_co_u32_e32 v1, vcc, s0, v12
	v_addc_co_u32_e32 v4, vcc, 0, v0, vcc
	v_add_co_u32_e32 v0, vcc, 0x1000, v1
	v_addc_co_u32_e32 v1, vcc, 0, v4, vcc
	global_store_dwordx2 v[0:1], v[2:3], off offset:2048
	s_endpgm
.LBB16_54:
	global_load_dwordx2 v[22:23], v[4:5], off
	s_or_b64 exec, exec, s[8:9]
                                        ; implicit-def: $vgpr24_vgpr25
	s_and_saveexec_b64 s[8:9], s[0:1]
	s_cbranch_execz .LBB16_13
.LBB16_55:
	global_load_dwordx2 v[24:25], v[4:5], off offset:512
	s_or_b64 exec, exec, s[8:9]
                                        ; implicit-def: $vgpr26_vgpr27
	s_and_saveexec_b64 s[0:1], s[2:3]
	s_cbranch_execz .LBB16_14
.LBB16_56:
	global_load_dwordx2 v[26:27], v[4:5], off offset:1024
	s_or_b64 exec, exec, s[0:1]
                                        ; implicit-def: $vgpr28_vgpr29
	s_and_saveexec_b64 s[0:1], s[6:7]
	s_cbranch_execnz .LBB16_15
	s_branch .LBB16_16
.LBB16_57:
	s_waitcnt lgkmcnt(1)
	global_store_dwordx2 v[8:9], v[4:5], off
	s_or_b64 exec, exec, s[4:5]
	s_and_saveexec_b64 s[4:5], s[0:1]
	s_cbranch_execz .LBB16_48
.LBB16_58:
	s_waitcnt lgkmcnt(1)
	global_store_dwordx2 v[8:9], v[6:7], off offset:2048
	s_or_b64 exec, exec, s[4:5]
	s_and_saveexec_b64 s[0:1], s[2:3]
	s_cbranch_execnz .LBB16_49
	s_branch .LBB16_50
	.section	.rodata,"a",@progbits
	.p2align	6, 0x0
	.amdhsa_kernel _ZN7rocprim17ROCPRIM_304000_NS6detail28radix_sort_block_sort_kernelINS1_36wrapped_radix_sort_block_sort_configINS0_13kernel_configILj256ELj4ELj4294967295EEEtN2at4cuda3cub6detail10OpaqueTypeILi8EEEEELb0EPKtPtPKSB_PSB_NS0_19identity_decomposerEEEvT1_T2_T3_T4_jT5_jj
		.amdhsa_group_segment_fixed_size 8192
		.amdhsa_private_segment_fixed_size 0
		.amdhsa_kernarg_size 304
		.amdhsa_user_sgpr_count 6
		.amdhsa_user_sgpr_private_segment_buffer 1
		.amdhsa_user_sgpr_dispatch_ptr 0
		.amdhsa_user_sgpr_queue_ptr 0
		.amdhsa_user_sgpr_kernarg_segment_ptr 1
		.amdhsa_user_sgpr_dispatch_id 0
		.amdhsa_user_sgpr_flat_scratch_init 0
		.amdhsa_user_sgpr_kernarg_preload_length 0
		.amdhsa_user_sgpr_kernarg_preload_offset 0
		.amdhsa_user_sgpr_private_segment_size 0
		.amdhsa_uses_dynamic_stack 0
		.amdhsa_system_sgpr_private_segment_wavefront_offset 0
		.amdhsa_system_sgpr_workgroup_id_x 1
		.amdhsa_system_sgpr_workgroup_id_y 0
		.amdhsa_system_sgpr_workgroup_id_z 0
		.amdhsa_system_sgpr_workgroup_info 0
		.amdhsa_system_vgpr_workitem_id 2
		.amdhsa_next_free_vgpr 50
		.amdhsa_next_free_sgpr 48
		.amdhsa_accum_offset 52
		.amdhsa_reserve_vcc 1
		.amdhsa_reserve_flat_scratch 0
		.amdhsa_float_round_mode_32 0
		.amdhsa_float_round_mode_16_64 0
		.amdhsa_float_denorm_mode_32 3
		.amdhsa_float_denorm_mode_16_64 3
		.amdhsa_dx10_clamp 1
		.amdhsa_ieee_mode 1
		.amdhsa_fp16_overflow 0
		.amdhsa_tg_split 0
		.amdhsa_exception_fp_ieee_invalid_op 0
		.amdhsa_exception_fp_denorm_src 0
		.amdhsa_exception_fp_ieee_div_zero 0
		.amdhsa_exception_fp_ieee_overflow 0
		.amdhsa_exception_fp_ieee_underflow 0
		.amdhsa_exception_fp_ieee_inexact 0
		.amdhsa_exception_int_div_zero 0
	.end_amdhsa_kernel
	.section	.text._ZN7rocprim17ROCPRIM_304000_NS6detail28radix_sort_block_sort_kernelINS1_36wrapped_radix_sort_block_sort_configINS0_13kernel_configILj256ELj4ELj4294967295EEEtN2at4cuda3cub6detail10OpaqueTypeILi8EEEEELb0EPKtPtPKSB_PSB_NS0_19identity_decomposerEEEvT1_T2_T3_T4_jT5_jj,"axG",@progbits,_ZN7rocprim17ROCPRIM_304000_NS6detail28radix_sort_block_sort_kernelINS1_36wrapped_radix_sort_block_sort_configINS0_13kernel_configILj256ELj4ELj4294967295EEEtN2at4cuda3cub6detail10OpaqueTypeILi8EEEEELb0EPKtPtPKSB_PSB_NS0_19identity_decomposerEEEvT1_T2_T3_T4_jT5_jj,comdat
.Lfunc_end16:
	.size	_ZN7rocprim17ROCPRIM_304000_NS6detail28radix_sort_block_sort_kernelINS1_36wrapped_radix_sort_block_sort_configINS0_13kernel_configILj256ELj4ELj4294967295EEEtN2at4cuda3cub6detail10OpaqueTypeILi8EEEEELb0EPKtPtPKSB_PSB_NS0_19identity_decomposerEEEvT1_T2_T3_T4_jT5_jj, .Lfunc_end16-_ZN7rocprim17ROCPRIM_304000_NS6detail28radix_sort_block_sort_kernelINS1_36wrapped_radix_sort_block_sort_configINS0_13kernel_configILj256ELj4ELj4294967295EEEtN2at4cuda3cub6detail10OpaqueTypeILi8EEEEELb0EPKtPtPKSB_PSB_NS0_19identity_decomposerEEEvT1_T2_T3_T4_jT5_jj
                                        ; -- End function
	.section	.AMDGPU.csdata,"",@progbits
; Kernel info:
; codeLenInByte = 3984
; NumSgprs: 52
; NumVgprs: 50
; NumAgprs: 0
; TotalNumVgprs: 50
; ScratchSize: 0
; MemoryBound: 0
; FloatMode: 240
; IeeeMode: 1
; LDSByteSize: 8192 bytes/workgroup (compile time only)
; SGPRBlocks: 6
; VGPRBlocks: 6
; NumSGPRsForWavesPerEU: 52
; NumVGPRsForWavesPerEU: 50
; AccumOffset: 52
; Occupancy: 8
; WaveLimiterHint : 1
; COMPUTE_PGM_RSRC2:SCRATCH_EN: 0
; COMPUTE_PGM_RSRC2:USER_SGPR: 6
; COMPUTE_PGM_RSRC2:TRAP_HANDLER: 0
; COMPUTE_PGM_RSRC2:TGID_X_EN: 1
; COMPUTE_PGM_RSRC2:TGID_Y_EN: 0
; COMPUTE_PGM_RSRC2:TGID_Z_EN: 0
; COMPUTE_PGM_RSRC2:TIDIG_COMP_CNT: 2
; COMPUTE_PGM_RSRC3_GFX90A:ACCUM_OFFSET: 12
; COMPUTE_PGM_RSRC3_GFX90A:TG_SPLIT: 0
	.section	.text._ZN7rocprim17ROCPRIM_304000_NS6detail45device_block_merge_mergepath_partition_kernelINS1_37wrapped_merge_sort_block_merge_configINS0_14default_configEtN2at4cuda3cub6detail10OpaqueTypeILi8EEEEEPtjNS1_19radix_merge_compareILb0ELb0EtNS0_19identity_decomposerEEEEEvT0_T1_jPSH_T2_SH_,"axG",@progbits,_ZN7rocprim17ROCPRIM_304000_NS6detail45device_block_merge_mergepath_partition_kernelINS1_37wrapped_merge_sort_block_merge_configINS0_14default_configEtN2at4cuda3cub6detail10OpaqueTypeILi8EEEEEPtjNS1_19radix_merge_compareILb0ELb0EtNS0_19identity_decomposerEEEEEvT0_T1_jPSH_T2_SH_,comdat
	.protected	_ZN7rocprim17ROCPRIM_304000_NS6detail45device_block_merge_mergepath_partition_kernelINS1_37wrapped_merge_sort_block_merge_configINS0_14default_configEtN2at4cuda3cub6detail10OpaqueTypeILi8EEEEEPtjNS1_19radix_merge_compareILb0ELb0EtNS0_19identity_decomposerEEEEEvT0_T1_jPSH_T2_SH_ ; -- Begin function _ZN7rocprim17ROCPRIM_304000_NS6detail45device_block_merge_mergepath_partition_kernelINS1_37wrapped_merge_sort_block_merge_configINS0_14default_configEtN2at4cuda3cub6detail10OpaqueTypeILi8EEEEEPtjNS1_19radix_merge_compareILb0ELb0EtNS0_19identity_decomposerEEEEEvT0_T1_jPSH_T2_SH_
	.globl	_ZN7rocprim17ROCPRIM_304000_NS6detail45device_block_merge_mergepath_partition_kernelINS1_37wrapped_merge_sort_block_merge_configINS0_14default_configEtN2at4cuda3cub6detail10OpaqueTypeILi8EEEEEPtjNS1_19radix_merge_compareILb0ELb0EtNS0_19identity_decomposerEEEEEvT0_T1_jPSH_T2_SH_
	.p2align	8
	.type	_ZN7rocprim17ROCPRIM_304000_NS6detail45device_block_merge_mergepath_partition_kernelINS1_37wrapped_merge_sort_block_merge_configINS0_14default_configEtN2at4cuda3cub6detail10OpaqueTypeILi8EEEEEPtjNS1_19radix_merge_compareILb0ELb0EtNS0_19identity_decomposerEEEEEvT0_T1_jPSH_T2_SH_,@function
_ZN7rocprim17ROCPRIM_304000_NS6detail45device_block_merge_mergepath_partition_kernelINS1_37wrapped_merge_sort_block_merge_configINS0_14default_configEtN2at4cuda3cub6detail10OpaqueTypeILi8EEEEEPtjNS1_19radix_merge_compareILb0ELb0EtNS0_19identity_decomposerEEEEEvT0_T1_jPSH_T2_SH_: ; @_ZN7rocprim17ROCPRIM_304000_NS6detail45device_block_merge_mergepath_partition_kernelINS1_37wrapped_merge_sort_block_merge_configINS0_14default_configEtN2at4cuda3cub6detail10OpaqueTypeILi8EEEEEPtjNS1_19radix_merge_compareILb0ELb0EtNS0_19identity_decomposerEEEEEvT0_T1_jPSH_T2_SH_
; %bb.0:
	s_load_dwordx2 s[0:1], s[4:5], 0x8
	v_lshl_or_b32 v0, s6, 7, v0
	s_waitcnt lgkmcnt(0)
	v_cmp_gt_u32_e32 vcc, s1, v0
	s_and_saveexec_b64 s[2:3], vcc
	s_cbranch_execz .LBB17_6
; %bb.1:
	s_load_dword s1, s[4:5], 0x1c
	s_waitcnt lgkmcnt(0)
	s_lshr_b32 s2, s1, 9
	s_and_b32 s2, s2, 0x7ffffe
	s_add_i32 s3, s2, -1
	s_sub_i32 s2, 0, s2
	v_and_b32_e32 v1, s2, v0
	v_and_b32_e32 v2, s3, v0
	v_lshlrev_b32_e32 v1, 10, v1
	v_lshlrev_b32_e32 v3, 10, v2
	v_min_u32_e32 v2, s0, v1
	v_add_u32_e32 v1, s1, v1
	v_min_u32_e32 v4, s0, v1
	v_add_u32_e32 v1, s1, v4
	v_min_u32_e32 v1, s0, v1
	v_sub_u32_e32 v5, v1, v2
	v_min_u32_e32 v6, v5, v3
	v_sub_u32_e32 v3, v4, v2
	v_sub_u32_e32 v1, v1, v4
	v_sub_u32_e64 v1, v6, v1 clamp
	v_min_u32_e32 v7, v6, v3
	v_cmp_lt_u32_e32 vcc, v1, v7
	s_and_saveexec_b64 s[0:1], vcc
	s_cbranch_execz .LBB17_5
; %bb.2:
	s_load_dwordx2 s[2:3], s[4:5], 0x0
	v_mov_b32_e32 v5, 0
	v_mov_b32_e32 v3, v5
	v_lshlrev_b64 v[8:9], 1, v[2:3]
	v_lshlrev_b64 v[10:11], 1, v[4:5]
	s_waitcnt lgkmcnt(0)
	v_mov_b32_e32 v12, s3
	v_add_co_u32_e32 v3, vcc, s2, v8
	v_addc_co_u32_e32 v8, vcc, v12, v9, vcc
	v_add_co_u32_e32 v9, vcc, s2, v10
	v_addc_co_u32_e32 v10, vcc, v12, v11, vcc
	s_mov_b64 s[2:3], 0
.LBB17_3:                               ; =>This Inner Loop Header: Depth=1
	v_add_u32_e32 v4, v7, v1
	v_and_b32_e32 v12, -2, v4
	v_lshrrev_b32_e32 v11, 1, v4
	v_add_co_u32_e32 v12, vcc, v3, v12
	v_xad_u32 v4, v11, -1, v6
	v_addc_co_u32_e32 v13, vcc, 0, v8, vcc
	global_load_ushort v14, v[12:13], off
	v_lshlrev_b64 v[12:13], 1, v[4:5]
	v_add_co_u32_e32 v12, vcc, v9, v12
	v_addc_co_u32_e32 v13, vcc, v10, v13, vcc
	global_load_ushort v4, v[12:13], off
	v_add_u32_e32 v12, 1, v11
	s_waitcnt vmcnt(0)
	v_cmp_gt_u16_e32 vcc, v14, v4
	v_cndmask_b32_e32 v7, v7, v11, vcc
	v_cndmask_b32_e32 v1, v12, v1, vcc
	v_cmp_ge_u32_e32 vcc, v1, v7
	s_or_b64 s[2:3], vcc, s[2:3]
	s_andn2_b64 exec, exec, s[2:3]
	s_cbranch_execnz .LBB17_3
; %bb.4:
	s_or_b64 exec, exec, s[2:3]
.LBB17_5:
	s_or_b64 exec, exec, s[0:1]
	s_load_dwordx2 s[0:1], s[4:5], 0x10
	v_add_u32_e32 v2, v1, v2
	v_mov_b32_e32 v1, 0
	v_lshlrev_b64 v[0:1], 2, v[0:1]
	s_waitcnt lgkmcnt(0)
	v_mov_b32_e32 v3, s1
	v_add_co_u32_e32 v0, vcc, s0, v0
	v_addc_co_u32_e32 v1, vcc, v3, v1, vcc
	global_store_dword v[0:1], v2, off
.LBB17_6:
	s_endpgm
	.section	.rodata,"a",@progbits
	.p2align	6, 0x0
	.amdhsa_kernel _ZN7rocprim17ROCPRIM_304000_NS6detail45device_block_merge_mergepath_partition_kernelINS1_37wrapped_merge_sort_block_merge_configINS0_14default_configEtN2at4cuda3cub6detail10OpaqueTypeILi8EEEEEPtjNS1_19radix_merge_compareILb0ELb0EtNS0_19identity_decomposerEEEEEvT0_T1_jPSH_T2_SH_
		.amdhsa_group_segment_fixed_size 0
		.amdhsa_private_segment_fixed_size 0
		.amdhsa_kernarg_size 32
		.amdhsa_user_sgpr_count 6
		.amdhsa_user_sgpr_private_segment_buffer 1
		.amdhsa_user_sgpr_dispatch_ptr 0
		.amdhsa_user_sgpr_queue_ptr 0
		.amdhsa_user_sgpr_kernarg_segment_ptr 1
		.amdhsa_user_sgpr_dispatch_id 0
		.amdhsa_user_sgpr_flat_scratch_init 0
		.amdhsa_user_sgpr_kernarg_preload_length 0
		.amdhsa_user_sgpr_kernarg_preload_offset 0
		.amdhsa_user_sgpr_private_segment_size 0
		.amdhsa_uses_dynamic_stack 0
		.amdhsa_system_sgpr_private_segment_wavefront_offset 0
		.amdhsa_system_sgpr_workgroup_id_x 1
		.amdhsa_system_sgpr_workgroup_id_y 0
		.amdhsa_system_sgpr_workgroup_id_z 0
		.amdhsa_system_sgpr_workgroup_info 0
		.amdhsa_system_vgpr_workitem_id 0
		.amdhsa_next_free_vgpr 15
		.amdhsa_next_free_sgpr 7
		.amdhsa_accum_offset 16
		.amdhsa_reserve_vcc 1
		.amdhsa_reserve_flat_scratch 0
		.amdhsa_float_round_mode_32 0
		.amdhsa_float_round_mode_16_64 0
		.amdhsa_float_denorm_mode_32 3
		.amdhsa_float_denorm_mode_16_64 3
		.amdhsa_dx10_clamp 1
		.amdhsa_ieee_mode 1
		.amdhsa_fp16_overflow 0
		.amdhsa_tg_split 0
		.amdhsa_exception_fp_ieee_invalid_op 0
		.amdhsa_exception_fp_denorm_src 0
		.amdhsa_exception_fp_ieee_div_zero 0
		.amdhsa_exception_fp_ieee_overflow 0
		.amdhsa_exception_fp_ieee_underflow 0
		.amdhsa_exception_fp_ieee_inexact 0
		.amdhsa_exception_int_div_zero 0
	.end_amdhsa_kernel
	.section	.text._ZN7rocprim17ROCPRIM_304000_NS6detail45device_block_merge_mergepath_partition_kernelINS1_37wrapped_merge_sort_block_merge_configINS0_14default_configEtN2at4cuda3cub6detail10OpaqueTypeILi8EEEEEPtjNS1_19radix_merge_compareILb0ELb0EtNS0_19identity_decomposerEEEEEvT0_T1_jPSH_T2_SH_,"axG",@progbits,_ZN7rocprim17ROCPRIM_304000_NS6detail45device_block_merge_mergepath_partition_kernelINS1_37wrapped_merge_sort_block_merge_configINS0_14default_configEtN2at4cuda3cub6detail10OpaqueTypeILi8EEEEEPtjNS1_19radix_merge_compareILb0ELb0EtNS0_19identity_decomposerEEEEEvT0_T1_jPSH_T2_SH_,comdat
.Lfunc_end17:
	.size	_ZN7rocprim17ROCPRIM_304000_NS6detail45device_block_merge_mergepath_partition_kernelINS1_37wrapped_merge_sort_block_merge_configINS0_14default_configEtN2at4cuda3cub6detail10OpaqueTypeILi8EEEEEPtjNS1_19radix_merge_compareILb0ELb0EtNS0_19identity_decomposerEEEEEvT0_T1_jPSH_T2_SH_, .Lfunc_end17-_ZN7rocprim17ROCPRIM_304000_NS6detail45device_block_merge_mergepath_partition_kernelINS1_37wrapped_merge_sort_block_merge_configINS0_14default_configEtN2at4cuda3cub6detail10OpaqueTypeILi8EEEEEPtjNS1_19radix_merge_compareILb0ELb0EtNS0_19identity_decomposerEEEEEvT0_T1_jPSH_T2_SH_
                                        ; -- End function
	.section	.AMDGPU.csdata,"",@progbits
; Kernel info:
; codeLenInByte = 356
; NumSgprs: 11
; NumVgprs: 15
; NumAgprs: 0
; TotalNumVgprs: 15
; ScratchSize: 0
; MemoryBound: 0
; FloatMode: 240
; IeeeMode: 1
; LDSByteSize: 0 bytes/workgroup (compile time only)
; SGPRBlocks: 1
; VGPRBlocks: 1
; NumSGPRsForWavesPerEU: 11
; NumVGPRsForWavesPerEU: 15
; AccumOffset: 16
; Occupancy: 8
; WaveLimiterHint : 0
; COMPUTE_PGM_RSRC2:SCRATCH_EN: 0
; COMPUTE_PGM_RSRC2:USER_SGPR: 6
; COMPUTE_PGM_RSRC2:TRAP_HANDLER: 0
; COMPUTE_PGM_RSRC2:TGID_X_EN: 1
; COMPUTE_PGM_RSRC2:TGID_Y_EN: 0
; COMPUTE_PGM_RSRC2:TGID_Z_EN: 0
; COMPUTE_PGM_RSRC2:TIDIG_COMP_CNT: 0
; COMPUTE_PGM_RSRC3_GFX90A:ACCUM_OFFSET: 3
; COMPUTE_PGM_RSRC3_GFX90A:TG_SPLIT: 0
	.section	.text._ZN7rocprim17ROCPRIM_304000_NS6detail35device_block_merge_mergepath_kernelINS1_37wrapped_merge_sort_block_merge_configINS0_14default_configEtN2at4cuda3cub6detail10OpaqueTypeILi8EEEEEPtSC_PSA_SD_jNS1_19radix_merge_compareILb0ELb0EtNS0_19identity_decomposerEEEEEvT0_T1_T2_T3_T4_SL_jT5_PKSL_NS1_7vsmem_tE,"axG",@progbits,_ZN7rocprim17ROCPRIM_304000_NS6detail35device_block_merge_mergepath_kernelINS1_37wrapped_merge_sort_block_merge_configINS0_14default_configEtN2at4cuda3cub6detail10OpaqueTypeILi8EEEEEPtSC_PSA_SD_jNS1_19radix_merge_compareILb0ELb0EtNS0_19identity_decomposerEEEEEvT0_T1_T2_T3_T4_SL_jT5_PKSL_NS1_7vsmem_tE,comdat
	.protected	_ZN7rocprim17ROCPRIM_304000_NS6detail35device_block_merge_mergepath_kernelINS1_37wrapped_merge_sort_block_merge_configINS0_14default_configEtN2at4cuda3cub6detail10OpaqueTypeILi8EEEEEPtSC_PSA_SD_jNS1_19radix_merge_compareILb0ELb0EtNS0_19identity_decomposerEEEEEvT0_T1_T2_T3_T4_SL_jT5_PKSL_NS1_7vsmem_tE ; -- Begin function _ZN7rocprim17ROCPRIM_304000_NS6detail35device_block_merge_mergepath_kernelINS1_37wrapped_merge_sort_block_merge_configINS0_14default_configEtN2at4cuda3cub6detail10OpaqueTypeILi8EEEEEPtSC_PSA_SD_jNS1_19radix_merge_compareILb0ELb0EtNS0_19identity_decomposerEEEEEvT0_T1_T2_T3_T4_SL_jT5_PKSL_NS1_7vsmem_tE
	.globl	_ZN7rocprim17ROCPRIM_304000_NS6detail35device_block_merge_mergepath_kernelINS1_37wrapped_merge_sort_block_merge_configINS0_14default_configEtN2at4cuda3cub6detail10OpaqueTypeILi8EEEEEPtSC_PSA_SD_jNS1_19radix_merge_compareILb0ELb0EtNS0_19identity_decomposerEEEEEvT0_T1_T2_T3_T4_SL_jT5_PKSL_NS1_7vsmem_tE
	.p2align	8
	.type	_ZN7rocprim17ROCPRIM_304000_NS6detail35device_block_merge_mergepath_kernelINS1_37wrapped_merge_sort_block_merge_configINS0_14default_configEtN2at4cuda3cub6detail10OpaqueTypeILi8EEEEEPtSC_PSA_SD_jNS1_19radix_merge_compareILb0ELb0EtNS0_19identity_decomposerEEEEEvT0_T1_T2_T3_T4_SL_jT5_PKSL_NS1_7vsmem_tE,@function
_ZN7rocprim17ROCPRIM_304000_NS6detail35device_block_merge_mergepath_kernelINS1_37wrapped_merge_sort_block_merge_configINS0_14default_configEtN2at4cuda3cub6detail10OpaqueTypeILi8EEEEEPtSC_PSA_SD_jNS1_19radix_merge_compareILb0ELb0EtNS0_19identity_decomposerEEEEEvT0_T1_T2_T3_T4_SL_jT5_PKSL_NS1_7vsmem_tE: ; @_ZN7rocprim17ROCPRIM_304000_NS6detail35device_block_merge_mergepath_kernelINS1_37wrapped_merge_sort_block_merge_configINS0_14default_configEtN2at4cuda3cub6detail10OpaqueTypeILi8EEEEEPtSC_PSA_SD_jNS1_19radix_merge_compareILb0ELb0EtNS0_19identity_decomposerEEEEEvT0_T1_T2_T3_T4_SL_jT5_PKSL_NS1_7vsmem_tE
; %bb.0:
	s_load_dwordx2 s[26:27], s[4:5], 0x40
	s_load_dwordx4 s[16:19], s[4:5], 0x20
	s_add_u32 s2, s4, 64
	s_addc_u32 s3, s5, 0
	s_waitcnt lgkmcnt(0)
	s_mul_i32 s0, s27, s8
	s_add_i32 s0, s0, s7
	s_mul_i32 s0, s0, s26
	s_add_i32 s0, s0, s6
	s_cmp_ge_u32 s0, s18
	s_cbranch_scc1 .LBB18_69
; %bb.1:
	s_load_dwordx8 s[8:15], s[4:5], 0x0
	s_load_dwordx2 s[18:19], s[4:5], 0x30
	s_lshr_b32 s29, s16, 10
	s_cmp_lg_u32 s0, s29
	s_mov_b32 s1, 0
	s_cselect_b64 s[20:21], -1, 0
	s_lshl_b64 s[4:5], s[0:1], 2
	s_waitcnt lgkmcnt(0)
	s_add_u32 s4, s18, s4
	s_addc_u32 s5, s19, s5
	s_load_dwordx2 s[22:23], s[4:5], 0x0
	s_lshr_b32 s4, s17, 9
	s_and_b32 s4, s4, 0x7ffffe
	s_sub_i32 s4, 0, s4
	s_and_b32 s5, s0, s4
	s_lshl_b32 s7, s5, 10
	s_lshl_b32 s18, s0, 10
	;; [unrolled: 1-line block ×3, first 2 shown]
	s_sub_i32 s19, s18, s7
	s_add_i32 s5, s5, s17
	s_add_i32 s19, s5, s19
	s_waitcnt lgkmcnt(0)
	s_sub_i32 s24, s19, s22
	s_sub_i32 s19, s19, s23
	;; [unrolled: 1-line block ×3, first 2 shown]
	s_min_u32 s24, s16, s24
	s_addk_i32 s19, 0x400
	s_or_b32 s4, s0, s4
	s_min_u32 s7, s16, s5
	s_add_i32 s5, s5, s17
	s_cmp_eq_u32 s4, -1
	s_cselect_b32 s4, s5, s19
	s_cselect_b32 s5, s7, s23
	s_min_u32 s4, s4, s16
	s_mov_b32 s23, s1
	s_sub_i32 s19, s5, s22
	s_sub_i32 s27, s4, s24
	s_lshl_b64 s[4:5], s[22:23], 1
	s_add_u32 s7, s8, s4
	s_mov_b32 s25, s1
	s_addc_u32 s28, s9, s5
	s_lshl_b64 s[4:5], s[24:25], 1
	s_add_u32 s4, s8, s4
	s_addc_u32 s5, s9, s5
	s_cmp_lt_u32 s6, s26
	v_mov_b32_e32 v3, 0
	s_cselect_b32 s1, 12, 18
	global_load_dword v1, v3, s[2:3] offset:14
	s_add_u32 s2, s2, s1
	s_addc_u32 s3, s3, 0
	global_load_ushort v2, v3, s[2:3]
	v_cmp_gt_u32_e32 vcc, s19, v0
	s_cmp_eq_u32 s0, s29
	s_waitcnt vmcnt(1)
	v_lshrrev_b32_e32 v4, 16, v1
	v_and_b32_e32 v1, 0xffff, v1
	v_mul_lo_u32 v1, v1, v4
	s_waitcnt vmcnt(0)
	v_mul_lo_u32 v8, v1, v2
	v_add_u32_e32 v6, v8, v0
	v_lshlrev_b32_e32 v1, 1, v0
	v_add_u32_e32 v4, v6, v8
	s_cbranch_scc1 .LBB18_3
; %bb.2:
	v_mov_b32_e32 v2, s28
	v_add_co_u32_e64 v5, s[0:1], s7, v1
	v_addc_co_u32_e64 v7, s[0:1], 0, v2, s[0:1]
	v_subrev_u32_e32 v2, s19, v0
	v_lshlrev_b64 v[10:11], 1, v[2:3]
	v_mov_b32_e32 v2, s5
	v_add_co_u32_e64 v9, s[0:1], s4, v10
	v_addc_co_u32_e64 v2, s[0:1], v2, v11, s[0:1]
	v_cndmask_b32_e32 v11, v2, v7, vcc
	v_cndmask_b32_e32 v10, v9, v5, vcc
	v_mov_b32_e32 v7, v3
	global_load_ushort v9, v[10:11], off
	v_lshlrev_b64 v[10:11], 1, v[6:7]
	v_mov_b32_e32 v2, s28
	v_add_co_u32_e32 v5, vcc, s7, v10
	v_addc_co_u32_e32 v7, vcc, v2, v11, vcc
	v_subrev_u32_e32 v2, s19, v6
	v_lshlrev_b64 v[10:11], 1, v[2:3]
	v_mov_b32_e32 v2, s5
	v_add_co_u32_e32 v10, vcc, s4, v10
	v_addc_co_u32_e32 v2, vcc, v2, v11, vcc
	v_cmp_gt_u32_e32 vcc, s19, v6
	v_cndmask_b32_e32 v11, v2, v7, vcc
	v_cndmask_b32_e32 v10, v10, v5, vcc
	v_mov_b32_e32 v5, v3
	global_load_ushort v7, v[10:11], off
	v_lshlrev_b64 v[10:11], 1, v[4:5]
	v_mov_b32_e32 v2, s28
	v_add_co_u32_e32 v5, vcc, s7, v10
	v_addc_co_u32_e32 v12, vcc, v2, v11, vcc
	v_subrev_u32_e32 v2, s19, v4
	v_lshlrev_b64 v[10:11], 1, v[2:3]
	v_mov_b32_e32 v2, s5
	v_add_co_u32_e32 v10, vcc, s4, v10
	v_addc_co_u32_e32 v2, vcc, v2, v11, vcc
	v_cmp_gt_u32_e32 vcc, s19, v4
	v_cndmask_b32_e32 v11, v2, v12, vcc
	v_cndmask_b32_e32 v10, v10, v5, vcc
	v_add_u32_e32 v2, v4, v8
	global_load_ushort v5, v[10:11], off
	v_lshlrev_b64 v[10:11], 1, v[2:3]
	v_mov_b32_e32 v12, s28
	v_add_co_u32_e32 v10, vcc, s7, v10
	v_addc_co_u32_e32 v11, vcc, v12, v11, vcc
	v_cmp_gt_u32_e32 vcc, s19, v2
	v_subrev_u32_e32 v2, s19, v2
	v_lshlrev_b64 v[2:3], 1, v[2:3]
	v_mov_b32_e32 v12, s5
	v_add_co_u32_e64 v2, s[0:1], s4, v2
	v_addc_co_u32_e64 v3, s[0:1], v12, v3, s[0:1]
	v_cndmask_b32_e32 v3, v3, v11, vcc
	v_cndmask_b32_e32 v2, v2, v10, vcc
	global_load_ushort v3, v[2:3], off
	s_mov_b32 s0, 0x5040100
	s_add_i32 s17, s27, s19
	s_waitcnt vmcnt(2)
	v_perm_b32 v2, v7, v9, s0
	s_waitcnt vmcnt(0)
	v_perm_b32 v3, v3, v5, s0
	s_cbranch_execz .LBB18_4
	s_branch .LBB18_11
.LBB18_3:
                                        ; implicit-def: $vgpr2_vgpr3
                                        ; implicit-def: $sgpr17
.LBB18_4:
	s_add_i32 s17, s27, s19
	v_cmp_gt_u32_e32 vcc, s17, v0
                                        ; implicit-def: $vgpr2_vgpr3
	s_and_saveexec_b64 s[0:1], vcc
	s_cbranch_execnz .LBB18_70
; %bb.5:
	s_or_b64 exec, exec, s[0:1]
	v_cmp_gt_u32_e32 vcc, s17, v6
	s_and_saveexec_b64 s[2:3], vcc
	s_cbranch_execnz .LBB18_71
.LBB18_6:
	s_or_b64 exec, exec, s[2:3]
	v_cmp_gt_u32_e32 vcc, s17, v4
	s_and_saveexec_b64 s[0:1], vcc
	s_cbranch_execz .LBB18_8
.LBB18_7:
	v_mov_b32_e32 v5, 0
	v_lshlrev_b64 v[6:7], 1, v[4:5]
	v_mov_b32_e32 v9, s28
	v_add_co_u32_e32 v10, vcc, s7, v6
	v_addc_co_u32_e32 v9, vcc, v9, v7, vcc
	v_subrev_u32_e32 v6, s19, v4
	v_mov_b32_e32 v7, v5
	v_lshlrev_b64 v[6:7], 1, v[6:7]
	v_mov_b32_e32 v5, s5
	v_add_co_u32_e32 v6, vcc, s4, v6
	v_addc_co_u32_e32 v5, vcc, v5, v7, vcc
	v_cmp_gt_u32_e32 vcc, s19, v4
	v_cndmask_b32_e32 v7, v5, v9, vcc
	v_cndmask_b32_e32 v6, v6, v10, vcc
	global_load_ushort v5, v[6:7], off
	s_mov_b32 s2, 0xffff
	s_waitcnt vmcnt(0)
	v_bfi_b32 v3, s2, v5, v3
.LBB18_8:
	s_or_b64 exec, exec, s[0:1]
	v_add_u32_e32 v4, v4, v8
	v_cmp_gt_u32_e32 vcc, s17, v4
	s_and_saveexec_b64 s[2:3], vcc
	s_cbranch_execz .LBB18_10
; %bb.9:
	v_mov_b32_e32 v5, 0
	v_lshlrev_b64 v[6:7], 1, v[4:5]
	v_mov_b32_e32 v8, s28
	v_add_co_u32_e32 v6, vcc, s7, v6
	v_addc_co_u32_e32 v7, vcc, v8, v7, vcc
	v_cmp_gt_u32_e32 vcc, s19, v4
	v_subrev_u32_e32 v4, s19, v4
	v_lshlrev_b64 v[4:5], 1, v[4:5]
	v_mov_b32_e32 v8, s5
	v_add_co_u32_e64 v4, s[0:1], s4, v4
	v_addc_co_u32_e64 v5, s[0:1], v8, v5, s[0:1]
	v_cndmask_b32_e32 v5, v5, v7, vcc
	v_cndmask_b32_e32 v4, v4, v6, vcc
	global_load_ushort v4, v[4:5], off
	s_mov_b32 s0, 0x5040100
	s_waitcnt vmcnt(0)
	v_perm_b32 v3, v4, v3, s0
.LBB18_10:
	s_or_b64 exec, exec, s[2:3]
.LBB18_11:
	v_lshlrev_b32_e32 v8, 2, v0
	v_min_u32_e32 v5, s17, v8
	v_sub_u32_e64 v4, v5, s27 clamp
	v_min_u32_e32 v6, s19, v5
	v_cmp_lt_u32_e32 vcc, v4, v6
	s_waitcnt vmcnt(0)
	ds_write_b16 v1, v2
	ds_write_b16_d16_hi v1, v2 offset:512
	ds_write_b16 v1, v3 offset:1024
	ds_write_b16_d16_hi v1, v3 offset:1536
	s_waitcnt lgkmcnt(0)
	s_barrier
	s_and_saveexec_b64 s[0:1], vcc
	s_cbranch_execz .LBB18_15
; %bb.12:
	v_lshlrev_b32_e32 v7, 1, v5
	v_lshl_add_u32 v7, s19, 1, v7
	s_mov_b64 s[2:3], 0
.LBB18_13:                              ; =>This Inner Loop Header: Depth=1
	v_add_u32_e32 v9, v6, v4
	v_lshrrev_b32_e32 v10, 1, v9
	v_not_b32_e32 v11, v10
	v_and_b32_e32 v9, -2, v9
	v_lshl_add_u32 v11, v11, 1, v7
	ds_read_u16 v9, v9
	ds_read_u16 v11, v11
	v_add_u32_e32 v12, 1, v10
	s_waitcnt lgkmcnt(0)
	v_cmp_gt_u16_e32 vcc, v9, v11
	v_cndmask_b32_e32 v6, v6, v10, vcc
	v_cndmask_b32_e32 v4, v12, v4, vcc
	v_cmp_ge_u32_e32 vcc, v4, v6
	s_or_b64 s[2:3], vcc, s[2:3]
	s_andn2_b64 exec, exec, s[2:3]
	s_cbranch_execnz .LBB18_13
; %bb.14:
	s_or_b64 exec, exec, s[2:3]
.LBB18_15:
	s_or_b64 exec, exec, s[0:1]
	v_sub_u32_e32 v5, v5, v4
	v_add_u32_e32 v5, s19, v5
	v_cmp_ge_u32_e32 vcc, s19, v4
	v_cmp_ge_u32_e64 s[0:1], s17, v5
	s_or_b64 s[0:1], vcc, s[0:1]
                                        ; implicit-def: $vgpr9
                                        ; implicit-def: $vgpr10
                                        ; implicit-def: $vgpr11
                                        ; implicit-def: $vgpr12
	s_and_saveexec_b64 s[8:9], s[0:1]
	s_cbranch_execz .LBB18_21
; %bb.16:
	v_cmp_gt_u32_e32 vcc, s19, v4
                                        ; implicit-def: $vgpr2
	s_and_saveexec_b64 s[0:1], vcc
	s_cbranch_execz .LBB18_18
; %bb.17:
	v_lshlrev_b32_e32 v2, 1, v4
	ds_read_u16 v2, v2
.LBB18_18:
	s_or_b64 exec, exec, s[0:1]
	v_cmp_le_u32_e64 s[0:1], s17, v5
	v_cmp_gt_u32_e64 s[2:3], s17, v5
                                        ; implicit-def: $vgpr3
	s_and_saveexec_b64 s[4:5], s[2:3]
	s_cbranch_execz .LBB18_20
; %bb.19:
	v_lshlrev_b32_e32 v3, 1, v5
	ds_read_u16 v3, v3
.LBB18_20:
	s_or_b64 exec, exec, s[4:5]
	s_waitcnt lgkmcnt(0)
	v_cmp_le_u16_e64 s[2:3], v2, v3
	s_and_b64 s[2:3], vcc, s[2:3]
	s_or_b64 vcc, s[0:1], s[2:3]
	v_mov_b32_e32 v6, s17
	v_mov_b32_e32 v7, s19
	v_cndmask_b32_e32 v12, v5, v4, vcc
	v_cndmask_b32_e32 v9, v6, v7, vcc
	v_add_u32_e32 v10, 1, v12
	v_add_u32_e32 v9, -1, v9
	v_min_u32_e32 v9, v10, v9
	v_lshlrev_b32_e32 v9, 1, v9
	ds_read_u16 v9, v9
	v_cndmask_b32_e32 v4, v4, v10, vcc
	v_cndmask_b32_e32 v5, v10, v5, vcc
	v_cmp_gt_u32_e64 s[2:3], s19, v4
	v_cmp_le_u32_e64 s[0:1], s17, v5
	s_waitcnt lgkmcnt(0)
	v_cndmask_b32_e32 v13, v9, v3, vcc
	v_cndmask_b32_e32 v9, v2, v9, vcc
	v_cmp_le_u16_e64 s[4:5], v9, v13
	s_and_b64 s[2:3], s[2:3], s[4:5]
	s_or_b64 s[0:1], s[0:1], s[2:3]
	v_cndmask_b32_e64 v11, v5, v4, s[0:1]
	v_cndmask_b32_e64 v10, v6, v7, s[0:1]
	v_add_u32_e32 v14, 1, v11
	v_add_u32_e32 v10, -1, v10
	v_min_u32_e32 v10, v14, v10
	v_lshlrev_b32_e32 v10, 1, v10
	ds_read_u16 v10, v10
	v_cndmask_b32_e64 v4, v4, v14, s[0:1]
	v_cndmask_b32_e64 v5, v14, v5, s[0:1]
	v_cmp_gt_u32_e64 s[4:5], s19, v4
	v_cmp_le_u32_e64 s[2:3], s17, v5
	s_waitcnt lgkmcnt(0)
	v_cndmask_b32_e64 v15, v10, v13, s[0:1]
	v_cndmask_b32_e64 v16, v9, v10, s[0:1]
	v_cmp_le_u16_e64 s[6:7], v16, v15
	s_and_b64 s[4:5], s[4:5], s[6:7]
	s_or_b64 s[2:3], s[2:3], s[4:5]
	v_cndmask_b32_e64 v10, v5, v4, s[2:3]
	v_cndmask_b32_e64 v6, v6, v7, s[2:3]
	v_add_u32_e32 v7, 1, v10
	v_add_u32_e32 v6, -1, v6
	v_min_u32_e32 v6, v7, v6
	v_lshlrev_b32_e32 v6, 1, v6
	ds_read_u16 v6, v6
	v_cndmask_b32_e64 v4, v4, v7, s[2:3]
	v_cndmask_b32_e32 v2, v3, v2, vcc
	v_cndmask_b32_e64 v13, v13, v9, s[0:1]
	v_cndmask_b32_e64 v3, v15, v16, s[2:3]
	s_waitcnt lgkmcnt(0)
	v_cndmask_b32_e64 v14, v6, v15, s[2:3]
	v_cndmask_b32_e64 v6, v16, v6, s[2:3]
	;; [unrolled: 1-line block ×3, first 2 shown]
	v_cmp_gt_u32_e64 s[0:1], s19, v4
	v_cmp_le_u16_e64 s[2:3], v6, v14
	v_cmp_le_u32_e32 vcc, s17, v5
	s_and_b64 s[0:1], s[0:1], s[2:3]
	s_or_b64 vcc, vcc, s[0:1]
	v_cndmask_b32_e32 v9, v5, v4, vcc
	v_cndmask_b32_e32 v4, v14, v6, vcc
	s_mov_b32 s0, 0x5040100
	v_perm_b32 v3, v4, v3, s0
	v_perm_b32 v2, v13, v2, s0
.LBB18_21:
	s_or_b64 exec, exec, s[8:9]
	s_lshl_b64 s[0:1], s[22:23], 3
	s_add_u32 s26, s12, s0
	s_addc_u32 s28, s13, s1
	s_lshl_b64 s[0:1], s[24:25], 3
	s_add_u32 s29, s12, s0
	v_cndmask_b32_e64 v4, 0, 1, s[20:21]
	s_addc_u32 s30, s13, s1
	v_cmp_gt_u32_e64 s[4:5], s19, v0
	v_cmp_ne_u32_e64 s[0:1], 1, v4
	s_andn2_b64 vcc, exec, s[20:21]
	v_cmp_le_u32_e64 s[2:3], s19, v0
	s_barrier
	s_cbranch_vccnz .LBB18_23
; %bb.22:
	v_subrev_u32_e32 v4, s19, v0
	v_mov_b32_e32 v5, 0
	v_lshlrev_b64 v[6:7], 3, v[4:5]
	v_mov_b32_e32 v4, s30
	v_add_co_u32_e32 v6, vcc, s29, v6
	v_addc_co_u32_e32 v4, vcc, v4, v7, vcc
	v_lshlrev_b32_e32 v18, 3, v0
	v_mov_b32_e32 v7, s28
	v_add_co_u32_e32 v19, vcc, s26, v18
	v_addc_co_u32_e32 v20, vcc, 0, v7, vcc
	v_cndmask_b32_e64 v7, v4, v20, s[4:5]
	v_cndmask_b32_e64 v6, v6, v19, s[4:5]
	v_or_b32_e32 v13, 0x100, v0
	s_movk_i32 s4, 0x800
	v_add_co_u32_e32 v16, vcc, s4, v19
	v_subrev_u32_e32 v4, s19, v13
	v_addc_co_u32_e32 v17, vcc, 0, v20, vcc
	v_lshlrev_b64 v[14:15], 3, v[4:5]
	v_mov_b32_e32 v4, s30
	v_add_co_u32_e32 v14, vcc, s29, v14
	v_addc_co_u32_e32 v4, vcc, v4, v15, vcc
	v_cmp_gt_u32_e32 vcc, s19, v13
	v_or_b32_e32 v13, 0x200, v0
	s_movk_i32 s4, 0x1000
	v_cndmask_b32_e32 v15, v4, v17, vcc
	v_cndmask_b32_e32 v14, v14, v16, vcc
	v_add_co_u32_e32 v21, vcc, s4, v19
	v_subrev_u32_e32 v4, s19, v13
	v_addc_co_u32_e32 v22, vcc, 0, v20, vcc
	v_lshlrev_b64 v[16:17], 3, v[4:5]
	v_mov_b32_e32 v4, s30
	v_add_co_u32_e32 v16, vcc, s29, v16
	v_addc_co_u32_e32 v4, vcc, v4, v17, vcc
	v_cmp_gt_u32_e32 vcc, s19, v13
	global_load_dwordx2 v[6:7], v[6:7], off
	v_cndmask_b32_e32 v17, v4, v22, vcc
	global_load_dwordx2 v[14:15], v[14:15], off
	v_cndmask_b32_e32 v16, v16, v21, vcc
	global_load_dwordx2 v[16:17], v[16:17], off
	v_or_b32_e32 v21, 0x300, v0
	s_movk_i32 s4, 0x1800
	v_add_co_u32_e32 v19, vcc, s4, v19
	v_subrev_u32_e32 v4, s19, v21
	v_addc_co_u32_e32 v20, vcc, 0, v20, vcc
	v_lshlrev_b64 v[4:5], 3, v[4:5]
	v_mov_b32_e32 v22, s30
	v_add_co_u32_e32 v4, vcc, s29, v4
	v_addc_co_u32_e32 v5, vcc, v22, v5, vcc
	v_cmp_gt_u32_e32 vcc, s19, v21
	v_or_b32_e32 v13, 0x1800, v18
	v_cndmask_b32_e32 v5, v5, v20, vcc
	v_cndmask_b32_e32 v4, v4, v19, vcc
	s_mov_b64 s[4:5], -1
	s_waitcnt vmcnt(1)
	ds_write2st64_b64 v18, v[6:7], v[14:15] offset1:4
	s_waitcnt vmcnt(0)
	ds_write_b64 v18, v[16:17] offset:4096
	s_cbranch_execz .LBB18_24
	s_branch .LBB18_43
.LBB18_23:
	s_mov_b64 s[4:5], 0
                                        ; implicit-def: $vgpr13
                                        ; implicit-def: $vgpr4_vgpr5
.LBB18_24:
	s_mov_b64 s[6:7], 0
                                        ; implicit-def: $vgpr4_vgpr5
	s_and_saveexec_b64 s[8:9], s[2:3]
	s_xor_b64 s[2:3], exec, s[8:9]
	s_cbranch_execnz .LBB18_72
; %bb.25:
	s_andn2_saveexec_b64 s[2:3], s[2:3]
	s_cbranch_execnz .LBB18_75
.LBB18_26:
	s_or_b64 exec, exec, s[2:3]
	v_mad_u32_u24 v13, v0, 6, v1
	s_and_saveexec_b64 s[2:3], s[6:7]
	s_cbranch_execz .LBB18_28
.LBB18_27:
	global_load_dwordx2 v[4:5], v[4:5], off
	s_waitcnt vmcnt(0)
	ds_write_b64 v13, v[4:5]
.LBB18_28:
	s_or_b64 exec, exec, s[2:3]
	v_or_b32_e32 v4, 0x100, v0
	v_cmp_le_u32_e32 vcc, s19, v4
	s_mov_b64 s[6:7], -1
	v_pk_mov_b32 v[6:7], s[22:23], s[22:23] op_sel:[0,1]
	s_and_saveexec_b64 s[2:3], vcc
; %bb.29:
	v_subrev_u32_e32 v4, s19, v4
	v_cmp_gt_u32_e32 vcc, s27, v4
	v_pk_mov_b32 v[6:7], s[24:25], s[24:25] op_sel:[0,1]
	s_orn2_b64 s[6:7], vcc, exec
; %bb.30:
	s_or_b64 exec, exec, s[2:3]
	s_and_saveexec_b64 s[2:3], s[6:7]
	s_cbranch_execz .LBB18_32
; %bb.31:
	v_lshlrev_b64 v[6:7], 3, v[6:7]
	v_mov_b32_e32 v5, s13
	v_add_co_u32_e32 v6, vcc, s12, v6
	v_addc_co_u32_e32 v7, vcc, v5, v7, vcc
	v_mov_b32_e32 v5, 0
	v_lshlrev_b64 v[4:5], 3, v[4:5]
	v_add_co_u32_e32 v4, vcc, v6, v4
	v_addc_co_u32_e32 v5, vcc, v7, v5, vcc
	global_load_dwordx2 v[4:5], v[4:5], off
	s_waitcnt vmcnt(0)
	ds_write_b64 v13, v[4:5] offset:2048
.LBB18_32:
	s_or_b64 exec, exec, s[2:3]
	v_or_b32_e32 v4, 0x200, v0
	v_cmp_le_u32_e32 vcc, s19, v4
	s_mov_b64 s[6:7], -1
	v_pk_mov_b32 v[6:7], s[22:23], s[22:23] op_sel:[0,1]
	s_and_saveexec_b64 s[2:3], vcc
; %bb.33:
	v_subrev_u32_e32 v4, s19, v4
	v_cmp_gt_u32_e32 vcc, s27, v4
	v_pk_mov_b32 v[6:7], s[24:25], s[24:25] op_sel:[0,1]
	s_orn2_b64 s[6:7], vcc, exec
; %bb.34:
	s_or_b64 exec, exec, s[2:3]
	s_and_saveexec_b64 s[2:3], s[6:7]
	s_cbranch_execz .LBB18_36
; %bb.35:
	v_lshlrev_b64 v[6:7], 3, v[6:7]
	v_mov_b32_e32 v5, s13
	v_add_co_u32_e32 v6, vcc, s12, v6
	v_addc_co_u32_e32 v7, vcc, v5, v7, vcc
	v_mov_b32_e32 v5, 0
	v_lshlrev_b64 v[4:5], 3, v[4:5]
	v_add_co_u32_e32 v4, vcc, v6, v4
	v_addc_co_u32_e32 v5, vcc, v7, v5, vcc
	global_load_dwordx2 v[4:5], v[4:5], off
	s_waitcnt vmcnt(0)
	ds_write_b64 v13, v[4:5] offset:4096
.LBB18_36:
	s_or_b64 exec, exec, s[2:3]
	v_or_b32_e32 v6, 0x300, v0
	v_cmp_le_u32_e32 vcc, s19, v6
                                        ; implicit-def: $vgpr13
                                        ; implicit-def: $vgpr4_vgpr5
	s_and_saveexec_b64 s[2:3], vcc
	s_xor_b64 s[2:3], exec, s[2:3]
	s_cbranch_execz .LBB18_40
; %bb.37:
	v_subrev_u32_e32 v6, s19, v6
	v_cmp_gt_u32_e32 vcc, s27, v6
	s_mov_b64 s[8:9], s[4:5]
                                        ; implicit-def: $vgpr13
                                        ; implicit-def: $vgpr4_vgpr5
	s_and_saveexec_b64 s[6:7], vcc
; %bb.38:
	v_mul_u32_u24_e32 v4, 6, v0
	s_movk_i32 s8, 0x1800
	v_mov_b32_e32 v7, 0
	v_add3_u32 v13, v1, v4, s8
	v_lshlrev_b64 v[4:5], 3, v[6:7]
	v_mov_b32_e32 v6, s30
	v_add_co_u32_e32 v4, vcc, s29, v4
	v_addc_co_u32_e32 v5, vcc, v6, v5, vcc
	s_or_b64 s[8:9], s[4:5], exec
; %bb.39:
	s_or_b64 exec, exec, s[6:7]
	s_andn2_b64 s[4:5], s[4:5], exec
	s_and_b64 s[6:7], s[8:9], exec
	s_or_b64 s[4:5], s[4:5], s[6:7]
                                        ; implicit-def: $vgpr6
.LBB18_40:
	s_andn2_saveexec_b64 s[2:3], s[2:3]
; %bb.41:
	v_lshlrev_b32_e32 v4, 3, v6
	v_mov_b32_e32 v5, s28
	v_add_co_u32_e32 v4, vcc, s26, v4
	v_mul_u32_u24_e32 v6, 6, v0
	s_movk_i32 s6, 0x1800
	v_addc_co_u32_e32 v5, vcc, 0, v5, vcc
	v_add3_u32 v13, v1, v6, s6
	s_or_b64 s[4:5], s[4:5], exec
; %bb.42:
	s_or_b64 exec, exec, s[2:3]
.LBB18_43:
	s_and_saveexec_b64 s[2:3], s[4:5]
	s_cbranch_execz .LBB18_45
; %bb.44:
	global_load_dwordx2 v[4:5], v[4:5], off
	s_waitcnt vmcnt(0)
	ds_write_b64 v13, v[4:5]
.LBB18_45:
	s_or_b64 exec, exec, s[2:3]
	s_and_b64 vcc, exec, s[0:1]
	v_add_u32_e32 v4, s18, v8
	s_waitcnt lgkmcnt(0)
	s_barrier
	s_cbranch_vccnz .LBB18_47
; %bb.46:
	v_lshlrev_b32_e32 v13, 3, v12
	v_lshlrev_b32_e32 v16, 3, v11
	;; [unrolled: 1-line block ×3, first 2 shown]
	ds_read_b64 v[14:15], v13
	ds_read_b64 v[16:17], v16
	;; [unrolled: 1-line block ×3, first 2 shown]
	v_mov_b32_e32 v5, 0
	v_lshlrev_b64 v[6:7], 3, v[4:5]
	v_mov_b32_e32 v20, s15
	v_add_co_u32_e32 v6, vcc, s14, v6
	v_addc_co_u32_e32 v7, vcc, v20, v7, vcc
	s_mov_b64 s[0:1], -1
	s_waitcnt lgkmcnt(1)
	global_store_dwordx4 v[6:7], v[14:17], off
	s_waitcnt lgkmcnt(0)
	global_store_dwordx2 v[6:7], v[18:19], off offset:16
	s_cbranch_execz .LBB18_48
	s_branch .LBB18_57
.LBB18_47:
	s_mov_b64 s[0:1], 0
.LBB18_48:
	v_cmp_gt_u32_e32 vcc, s17, v8
	s_and_saveexec_b64 s[2:3], vcc
	s_cbranch_execz .LBB18_50
; %bb.49:
	v_lshlrev_b32_e32 v12, 3, v12
	ds_read_b64 v[12:13], v12
	v_mov_b32_e32 v5, 0
	v_lshlrev_b64 v[6:7], 3, v[4:5]
	v_mov_b32_e32 v5, s15
	v_add_co_u32_e32 v6, vcc, s14, v6
	v_addc_co_u32_e32 v7, vcc, v5, v7, vcc
	s_waitcnt lgkmcnt(0)
	global_store_dwordx2 v[6:7], v[12:13], off
.LBB18_50:
	s_or_b64 exec, exec, s[2:3]
	v_or_b32_e32 v5, 1, v8
	v_cmp_gt_u32_e32 vcc, s17, v5
	s_and_saveexec_b64 s[2:3], vcc
	s_cbranch_execz .LBB18_52
; %bb.51:
	v_lshlrev_b32_e32 v11, 3, v11
	ds_read_b64 v[12:13], v11
	v_mov_b32_e32 v5, 0
	v_lshlrev_b64 v[6:7], 3, v[4:5]
	v_mov_b32_e32 v5, s15
	v_add_co_u32_e32 v6, vcc, s14, v6
	v_addc_co_u32_e32 v7, vcc, v5, v7, vcc
	s_waitcnt lgkmcnt(0)
	global_store_dwordx2 v[6:7], v[12:13], off offset:8
.LBB18_52:
	s_or_b64 exec, exec, s[2:3]
	v_or_b32_e32 v5, 2, v8
	v_cmp_gt_u32_e32 vcc, s17, v5
	s_and_saveexec_b64 s[2:3], vcc
	s_cbranch_execz .LBB18_54
; %bb.53:
	v_lshlrev_b32_e32 v10, 3, v10
	ds_read_b64 v[10:11], v10
	v_mov_b32_e32 v5, 0
	v_lshlrev_b64 v[6:7], 3, v[4:5]
	v_mov_b32_e32 v5, s15
	v_add_co_u32_e32 v6, vcc, s14, v6
	v_addc_co_u32_e32 v7, vcc, v5, v7, vcc
	s_waitcnt lgkmcnt(0)
	global_store_dwordx2 v[6:7], v[10:11], off offset:16
.LBB18_54:
	s_or_b64 exec, exec, s[2:3]
	v_or_b32_e32 v5, 3, v8
	v_cmp_gt_u32_e32 vcc, s17, v5
	s_and_saveexec_b64 s[2:3], vcc
; %bb.55:
	v_mov_b32_e32 v5, 0
	s_or_b64 s[0:1], s[0:1], exec
; %bb.56:
	s_or_b64 exec, exec, s[2:3]
.LBB18_57:
	s_and_saveexec_b64 s[2:3], s[0:1]
	s_cbranch_execz .LBB18_59
; %bb.58:
	v_lshlrev_b32_e32 v6, 3, v9
	ds_read_b64 v[6:7], v6
	v_lshlrev_b64 v[4:5], 3, v[4:5]
	v_mov_b32_e32 v10, s15
	v_add_co_u32_e32 v4, vcc, s14, v4
	v_addc_co_u32_e32 v5, vcc, v10, v5, vcc
	s_waitcnt lgkmcnt(0)
	global_store_dwordx2 v[4:5], v[6:7], off offset:24
.LBB18_59:
	s_or_b64 exec, exec, s[2:3]
	v_lshrrev_b32_e32 v4, 2, v0
	v_and_b32_e32 v4, 60, v4
	v_lshl_add_u32 v4, v8, 1, v4
	s_barrier
	s_barrier
	ds_write2_b32 v4, v2, v3 offset1:1
	v_lshrrev_b32_e32 v2, 4, v0
	v_and_b32_e32 v2, 12, v2
	v_or_b32_e32 v6, 0x100, v0
	v_add_u32_e32 v7, v1, v2
	v_lshrrev_b32_e32 v2, 4, v6
	v_and_b32_e32 v2, 28, v2
	v_or_b32_e32 v5, 0x200, v0
	s_mov_b32 s19, 0
	v_add_u32_e32 v8, v1, v2
	v_lshrrev_b32_e32 v2, 4, v5
	s_lshl_b64 s[0:1], s[18:19], 1
	v_and_b32_e32 v2, 44, v2
	v_or_b32_e32 v4, 0x300, v0
	s_add_u32 s0, s10, s0
	v_add_u32_e32 v9, v1, v2
	v_lshrrev_b32_e32 v2, 4, v4
	s_addc_u32 s1, s11, s1
	v_and_b32_e32 v2, 60, v2
	v_add_u32_e32 v10, v1, v2
	v_mov_b32_e32 v3, s1
	v_add_co_u32_e32 v2, vcc, s0, v1
	v_addc_co_u32_e32 v3, vcc, 0, v3, vcc
	s_and_b64 vcc, exec, s[20:21]
	s_waitcnt lgkmcnt(0)
	s_cbranch_vccz .LBB18_61
; %bb.60:
	s_barrier
	ds_read_u16 v11, v7
	ds_read_u16 v12, v8 offset:512
	ds_read_u16 v13, v9 offset:1024
	;; [unrolled: 1-line block ×3, first 2 shown]
	s_waitcnt lgkmcnt(3)
	global_store_short v[2:3], v11, off
	s_waitcnt lgkmcnt(2)
	global_store_short v[2:3], v12, off offset:512
	s_waitcnt lgkmcnt(1)
	global_store_short v[2:3], v13, off offset:1024
	s_mov_b64 s[0:1], -1
	s_cbranch_execz .LBB18_62
	s_branch .LBB18_67
.LBB18_61:
	s_mov_b64 s[0:1], 0
                                        ; implicit-def: $vgpr1
.LBB18_62:
	s_barrier
	s_waitcnt lgkmcnt(0)
	ds_read_u16 v11, v8 offset:512
	ds_read_u16 v8, v9 offset:1024
	ds_read_u16 v1, v10 offset:1536
	s_sub_i32 s2, s16, s18
	v_cmp_gt_u32_e32 vcc, s2, v0
	s_and_saveexec_b64 s[0:1], vcc
	s_cbranch_execnz .LBB18_76
; %bb.63:
	s_or_b64 exec, exec, s[0:1]
	v_cmp_gt_u32_e32 vcc, s2, v6
	s_and_saveexec_b64 s[0:1], vcc
	s_cbranch_execnz .LBB18_77
.LBB18_64:
	s_or_b64 exec, exec, s[0:1]
	v_cmp_gt_u32_e32 vcc, s2, v5
	s_and_saveexec_b64 s[0:1], vcc
	s_cbranch_execz .LBB18_66
.LBB18_65:
	s_waitcnt lgkmcnt(1)
	global_store_short v[2:3], v8, off offset:1024
.LBB18_66:
	s_or_b64 exec, exec, s[0:1]
	v_cmp_gt_u32_e64 s[0:1], s2, v4
.LBB18_67:
	s_and_saveexec_b64 s[2:3], s[0:1]
	s_cbranch_execz .LBB18_69
; %bb.68:
	s_waitcnt lgkmcnt(0)
	global_store_short v[2:3], v1, off offset:1536
.LBB18_69:
	s_endpgm
.LBB18_70:
	v_mov_b32_e32 v2, s28
	v_add_co_u32_e32 v5, vcc, s7, v1
	v_mov_b32_e32 v3, 0
	v_addc_co_u32_e32 v7, vcc, 0, v2, vcc
	v_subrev_u32_e32 v2, s19, v0
	v_lshlrev_b64 v[2:3], 1, v[2:3]
	v_mov_b32_e32 v9, s5
	v_add_co_u32_e32 v2, vcc, s4, v2
	v_addc_co_u32_e32 v3, vcc, v9, v3, vcc
	v_cmp_gt_u32_e32 vcc, s19, v0
	v_cndmask_b32_e32 v3, v3, v7, vcc
	v_cndmask_b32_e32 v2, v2, v5, vcc
	global_load_ushort v2, v[2:3], off
	s_or_b64 exec, exec, s[0:1]
	v_cmp_gt_u32_e32 vcc, s17, v6
	s_and_saveexec_b64 s[2:3], vcc
	s_cbranch_execz .LBB18_6
.LBB18_71:
	v_mov_b32_e32 v7, 0
	v_lshlrev_b64 v[10:11], 1, v[6:7]
	v_mov_b32_e32 v5, s28
	v_add_co_u32_e32 v9, vcc, s7, v10
	v_addc_co_u32_e32 v5, vcc, v5, v11, vcc
	v_cmp_gt_u32_e32 vcc, s19, v6
	v_subrev_u32_e32 v6, s19, v6
	v_lshlrev_b64 v[6:7], 1, v[6:7]
	v_mov_b32_e32 v10, s5
	v_add_co_u32_e64 v6, s[0:1], s4, v6
	v_addc_co_u32_e64 v7, s[0:1], v10, v7, s[0:1]
	v_cndmask_b32_e32 v7, v7, v5, vcc
	v_cndmask_b32_e32 v6, v6, v9, vcc
	global_load_ushort v5, v[6:7], off
	s_mov_b32 s0, 0x5040100
	s_waitcnt vmcnt(0)
	v_perm_b32 v2, v5, v2, s0
	s_or_b64 exec, exec, s[2:3]
	v_cmp_gt_u32_e32 vcc, s17, v4
	s_and_saveexec_b64 s[0:1], vcc
	s_cbranch_execnz .LBB18_7
	s_branch .LBB18_8
.LBB18_72:
	v_subrev_u32_e32 v6, s19, v0
	v_cmp_gt_u32_e32 vcc, s27, v6
                                        ; implicit-def: $vgpr4_vgpr5
	s_and_saveexec_b64 s[8:9], vcc
	s_xor_b64 s[8:9], exec, s[8:9]
; %bb.73:
	v_mov_b32_e32 v7, 0
	v_lshlrev_b64 v[4:5], 3, v[6:7]
	v_mov_b32_e32 v6, s30
	v_add_co_u32_e32 v4, vcc, s29, v4
	s_mov_b64 s[6:7], exec
	v_addc_co_u32_e32 v5, vcc, v6, v5, vcc
; %bb.74:
	s_or_b64 exec, exec, s[8:9]
	s_and_b64 s[6:7], s[6:7], exec
	s_andn2_saveexec_b64 s[2:3], s[2:3]
	s_cbranch_execz .LBB18_26
.LBB18_75:
	v_lshlrev_b32_e32 v4, 3, v0
	v_mov_b32_e32 v5, s28
	v_add_co_u32_e32 v4, vcc, s26, v4
	v_addc_co_u32_e32 v5, vcc, 0, v5, vcc
	s_or_b64 s[6:7], s[6:7], exec
	s_or_b64 exec, exec, s[2:3]
	v_mad_u32_u24 v13, v0, 6, v1
	s_and_saveexec_b64 s[2:3], s[6:7]
	s_cbranch_execnz .LBB18_27
	s_branch .LBB18_28
.LBB18_76:
	ds_read_u16 v0, v7
	s_waitcnt lgkmcnt(0)
	global_store_short v[2:3], v0, off
	s_or_b64 exec, exec, s[0:1]
	v_cmp_gt_u32_e32 vcc, s2, v6
	s_and_saveexec_b64 s[0:1], vcc
	s_cbranch_execz .LBB18_64
.LBB18_77:
	s_waitcnt lgkmcnt(2)
	global_store_short v[2:3], v11, off offset:512
	s_or_b64 exec, exec, s[0:1]
	v_cmp_gt_u32_e32 vcc, s2, v5
	s_and_saveexec_b64 s[0:1], vcc
	s_cbranch_execnz .LBB18_65
	s_branch .LBB18_66
	.section	.rodata,"a",@progbits
	.p2align	6, 0x0
	.amdhsa_kernel _ZN7rocprim17ROCPRIM_304000_NS6detail35device_block_merge_mergepath_kernelINS1_37wrapped_merge_sort_block_merge_configINS0_14default_configEtN2at4cuda3cub6detail10OpaqueTypeILi8EEEEEPtSC_PSA_SD_jNS1_19radix_merge_compareILb0ELb0EtNS0_19identity_decomposerEEEEEvT0_T1_T2_T3_T4_SL_jT5_PKSL_NS1_7vsmem_tE
		.amdhsa_group_segment_fixed_size 8208
		.amdhsa_private_segment_fixed_size 0
		.amdhsa_kernarg_size 320
		.amdhsa_user_sgpr_count 6
		.amdhsa_user_sgpr_private_segment_buffer 1
		.amdhsa_user_sgpr_dispatch_ptr 0
		.amdhsa_user_sgpr_queue_ptr 0
		.amdhsa_user_sgpr_kernarg_segment_ptr 1
		.amdhsa_user_sgpr_dispatch_id 0
		.amdhsa_user_sgpr_flat_scratch_init 0
		.amdhsa_user_sgpr_kernarg_preload_length 0
		.amdhsa_user_sgpr_kernarg_preload_offset 0
		.amdhsa_user_sgpr_private_segment_size 0
		.amdhsa_uses_dynamic_stack 0
		.amdhsa_system_sgpr_private_segment_wavefront_offset 0
		.amdhsa_system_sgpr_workgroup_id_x 1
		.amdhsa_system_sgpr_workgroup_id_y 1
		.amdhsa_system_sgpr_workgroup_id_z 1
		.amdhsa_system_sgpr_workgroup_info 0
		.amdhsa_system_vgpr_workitem_id 0
		.amdhsa_next_free_vgpr 23
		.amdhsa_next_free_sgpr 31
		.amdhsa_accum_offset 24
		.amdhsa_reserve_vcc 1
		.amdhsa_reserve_flat_scratch 0
		.amdhsa_float_round_mode_32 0
		.amdhsa_float_round_mode_16_64 0
		.amdhsa_float_denorm_mode_32 3
		.amdhsa_float_denorm_mode_16_64 3
		.amdhsa_dx10_clamp 1
		.amdhsa_ieee_mode 1
		.amdhsa_fp16_overflow 0
		.amdhsa_tg_split 0
		.amdhsa_exception_fp_ieee_invalid_op 0
		.amdhsa_exception_fp_denorm_src 0
		.amdhsa_exception_fp_ieee_div_zero 0
		.amdhsa_exception_fp_ieee_overflow 0
		.amdhsa_exception_fp_ieee_underflow 0
		.amdhsa_exception_fp_ieee_inexact 0
		.amdhsa_exception_int_div_zero 0
	.end_amdhsa_kernel
	.section	.text._ZN7rocprim17ROCPRIM_304000_NS6detail35device_block_merge_mergepath_kernelINS1_37wrapped_merge_sort_block_merge_configINS0_14default_configEtN2at4cuda3cub6detail10OpaqueTypeILi8EEEEEPtSC_PSA_SD_jNS1_19radix_merge_compareILb0ELb0EtNS0_19identity_decomposerEEEEEvT0_T1_T2_T3_T4_SL_jT5_PKSL_NS1_7vsmem_tE,"axG",@progbits,_ZN7rocprim17ROCPRIM_304000_NS6detail35device_block_merge_mergepath_kernelINS1_37wrapped_merge_sort_block_merge_configINS0_14default_configEtN2at4cuda3cub6detail10OpaqueTypeILi8EEEEEPtSC_PSA_SD_jNS1_19radix_merge_compareILb0ELb0EtNS0_19identity_decomposerEEEEEvT0_T1_T2_T3_T4_SL_jT5_PKSL_NS1_7vsmem_tE,comdat
.Lfunc_end18:
	.size	_ZN7rocprim17ROCPRIM_304000_NS6detail35device_block_merge_mergepath_kernelINS1_37wrapped_merge_sort_block_merge_configINS0_14default_configEtN2at4cuda3cub6detail10OpaqueTypeILi8EEEEEPtSC_PSA_SD_jNS1_19radix_merge_compareILb0ELb0EtNS0_19identity_decomposerEEEEEvT0_T1_T2_T3_T4_SL_jT5_PKSL_NS1_7vsmem_tE, .Lfunc_end18-_ZN7rocprim17ROCPRIM_304000_NS6detail35device_block_merge_mergepath_kernelINS1_37wrapped_merge_sort_block_merge_configINS0_14default_configEtN2at4cuda3cub6detail10OpaqueTypeILi8EEEEEPtSC_PSA_SD_jNS1_19radix_merge_compareILb0ELb0EtNS0_19identity_decomposerEEEEEvT0_T1_T2_T3_T4_SL_jT5_PKSL_NS1_7vsmem_tE
                                        ; -- End function
	.section	.AMDGPU.csdata,"",@progbits
; Kernel info:
; codeLenInByte = 3564
; NumSgprs: 35
; NumVgprs: 23
; NumAgprs: 0
; TotalNumVgprs: 23
; ScratchSize: 0
; MemoryBound: 1
; FloatMode: 240
; IeeeMode: 1
; LDSByteSize: 8208 bytes/workgroup (compile time only)
; SGPRBlocks: 4
; VGPRBlocks: 2
; NumSGPRsForWavesPerEU: 35
; NumVGPRsForWavesPerEU: 23
; AccumOffset: 24
; Occupancy: 7
; WaveLimiterHint : 1
; COMPUTE_PGM_RSRC2:SCRATCH_EN: 0
; COMPUTE_PGM_RSRC2:USER_SGPR: 6
; COMPUTE_PGM_RSRC2:TRAP_HANDLER: 0
; COMPUTE_PGM_RSRC2:TGID_X_EN: 1
; COMPUTE_PGM_RSRC2:TGID_Y_EN: 1
; COMPUTE_PGM_RSRC2:TGID_Z_EN: 1
; COMPUTE_PGM_RSRC2:TIDIG_COMP_CNT: 0
; COMPUTE_PGM_RSRC3_GFX90A:ACCUM_OFFSET: 5
; COMPUTE_PGM_RSRC3_GFX90A:TG_SPLIT: 0
	.section	.text._ZN7rocprim17ROCPRIM_304000_NS6detail33device_block_merge_oddeven_kernelINS1_37wrapped_merge_sort_block_merge_configINS0_14default_configEtN2at4cuda3cub6detail10OpaqueTypeILi8EEEEEPtSC_PSA_SD_jNS1_19radix_merge_compareILb0ELb0EtNS0_19identity_decomposerEEEEEvT0_T1_T2_T3_T4_SL_T5_,"axG",@progbits,_ZN7rocprim17ROCPRIM_304000_NS6detail33device_block_merge_oddeven_kernelINS1_37wrapped_merge_sort_block_merge_configINS0_14default_configEtN2at4cuda3cub6detail10OpaqueTypeILi8EEEEEPtSC_PSA_SD_jNS1_19radix_merge_compareILb0ELb0EtNS0_19identity_decomposerEEEEEvT0_T1_T2_T3_T4_SL_T5_,comdat
	.protected	_ZN7rocprim17ROCPRIM_304000_NS6detail33device_block_merge_oddeven_kernelINS1_37wrapped_merge_sort_block_merge_configINS0_14default_configEtN2at4cuda3cub6detail10OpaqueTypeILi8EEEEEPtSC_PSA_SD_jNS1_19radix_merge_compareILb0ELb0EtNS0_19identity_decomposerEEEEEvT0_T1_T2_T3_T4_SL_T5_ ; -- Begin function _ZN7rocprim17ROCPRIM_304000_NS6detail33device_block_merge_oddeven_kernelINS1_37wrapped_merge_sort_block_merge_configINS0_14default_configEtN2at4cuda3cub6detail10OpaqueTypeILi8EEEEEPtSC_PSA_SD_jNS1_19radix_merge_compareILb0ELb0EtNS0_19identity_decomposerEEEEEvT0_T1_T2_T3_T4_SL_T5_
	.globl	_ZN7rocprim17ROCPRIM_304000_NS6detail33device_block_merge_oddeven_kernelINS1_37wrapped_merge_sort_block_merge_configINS0_14default_configEtN2at4cuda3cub6detail10OpaqueTypeILi8EEEEEPtSC_PSA_SD_jNS1_19radix_merge_compareILb0ELb0EtNS0_19identity_decomposerEEEEEvT0_T1_T2_T3_T4_SL_T5_
	.p2align	8
	.type	_ZN7rocprim17ROCPRIM_304000_NS6detail33device_block_merge_oddeven_kernelINS1_37wrapped_merge_sort_block_merge_configINS0_14default_configEtN2at4cuda3cub6detail10OpaqueTypeILi8EEEEEPtSC_PSA_SD_jNS1_19radix_merge_compareILb0ELb0EtNS0_19identity_decomposerEEEEEvT0_T1_T2_T3_T4_SL_T5_,@function
_ZN7rocprim17ROCPRIM_304000_NS6detail33device_block_merge_oddeven_kernelINS1_37wrapped_merge_sort_block_merge_configINS0_14default_configEtN2at4cuda3cub6detail10OpaqueTypeILi8EEEEEPtSC_PSA_SD_jNS1_19radix_merge_compareILb0ELb0EtNS0_19identity_decomposerEEEEEvT0_T1_T2_T3_T4_SL_T5_: ; @_ZN7rocprim17ROCPRIM_304000_NS6detail33device_block_merge_oddeven_kernelINS1_37wrapped_merge_sort_block_merge_configINS0_14default_configEtN2at4cuda3cub6detail10OpaqueTypeILi8EEEEEPtSC_PSA_SD_jNS1_19radix_merge_compareILb0ELb0EtNS0_19identity_decomposerEEEEEvT0_T1_T2_T3_T4_SL_T5_
; %bb.0:
	s_load_dwordx2 s[16:17], s[4:5], 0x20
	s_waitcnt lgkmcnt(0)
	s_lshr_b32 s2, s16, 8
	s_cmp_lg_u32 s6, s2
	s_cselect_b64 s[0:1], -1, 0
	s_cmp_eq_u32 s6, s2
	s_cselect_b64 s[18:19], -1, 0
	s_lshl_b32 s20, s6, 8
	s_sub_i32 s2, s16, s20
	v_cmp_gt_u32_e64 s[2:3], s2, v0
	s_or_b64 s[0:1], s[0:1], s[2:3]
	s_and_saveexec_b64 s[8:9], s[0:1]
	s_cbranch_execz .LBB19_26
; %bb.1:
	s_load_dwordx8 s[8:15], s[4:5], 0x0
	s_mov_b32 s21, 0
	s_lshl_b64 s[0:1], s[20:21], 1
	v_lshlrev_b32_e32 v4, 3, v0
	v_lshlrev_b32_e32 v1, 1, v0
	s_waitcnt lgkmcnt(0)
	s_add_u32 s0, s8, s0
	s_addc_u32 s1, s9, s1
	s_lshl_b64 s[4:5], s[20:21], 3
	s_add_u32 s4, s12, s4
	s_addc_u32 s5, s13, s5
	global_load_dwordx2 v[2:3], v4, s[4:5]
	global_load_ushort v6, v1, s[0:1]
	s_lshr_b32 s0, s17, 8
	s_sub_i32 s1, 0, s0
	s_and_b32 s1, s6, s1
	s_and_b32 s0, s1, s0
	s_lshl_b32 s22, s1, 8
	s_sub_i32 s6, 0, s17
	s_cmp_eq_u32 s0, 0
	s_cselect_b64 s[0:1], -1, 0
	s_and_b64 s[4:5], s[0:1], exec
	s_cselect_b32 s21, s17, s6
	s_add_i32 s21, s21, s22
	s_cmp_lt_u32 s21, s16
	v_add_u32_e32 v4, s20, v0
	s_cbranch_scc1 .LBB19_6
; %bb.2:
	s_and_b64 vcc, exec, s[18:19]
	s_cbranch_vccz .LBB19_7
; %bb.3:
	v_cmp_gt_u32_e32 vcc, s16, v4
	s_mov_b64 s[6:7], 0
	s_mov_b64 s[4:5], 0
                                        ; implicit-def: $vgpr0_vgpr1
	s_and_saveexec_b64 s[12:13], vcc
	s_cbranch_execz .LBB19_5
; %bb.4:
	v_mov_b32_e32 v5, 0
	v_lshlrev_b64 v[0:1], 3, v[4:5]
	v_mov_b32_e32 v7, s15
	v_add_co_u32_e32 v0, vcc, s14, v0
	v_addc_co_u32_e32 v1, vcc, v7, v1, vcc
	v_lshlrev_b64 v[8:9], 1, v[4:5]
	v_mov_b32_e32 v5, s11
	v_add_co_u32_e32 v8, vcc, s10, v8
	s_mov_b64 s[4:5], exec
	v_addc_co_u32_e32 v9, vcc, v5, v9, vcc
	s_waitcnt vmcnt(0)
	global_store_short v[8:9], v6, off
.LBB19_5:
	s_or_b64 exec, exec, s[12:13]
	s_and_b64 vcc, exec, s[6:7]
	s_cbranch_vccnz .LBB19_8
	s_branch .LBB19_9
.LBB19_6:
	s_mov_b64 s[4:5], 0
                                        ; implicit-def: $vgpr0_vgpr1
	s_cbranch_execnz .LBB19_10
	s_branch .LBB19_24
.LBB19_7:
	s_mov_b64 s[4:5], 0
                                        ; implicit-def: $vgpr0_vgpr1
	s_cbranch_execz .LBB19_9
.LBB19_8:
	v_mov_b32_e32 v5, 0
	v_lshlrev_b64 v[0:1], 1, v[4:5]
	v_mov_b32_e32 v7, s11
	v_add_co_u32_e32 v0, vcc, s10, v0
	v_addc_co_u32_e32 v1, vcc, v7, v1, vcc
	s_waitcnt vmcnt(0)
	global_store_short v[0:1], v6, off
	v_lshlrev_b64 v[0:1], 3, v[4:5]
	v_mov_b32_e32 v5, s15
	v_add_co_u32_e32 v0, vcc, s14, v0
	v_addc_co_u32_e32 v1, vcc, v5, v1, vcc
	s_or_b64 s[4:5], s[4:5], exec
.LBB19_9:
	s_branch .LBB19_24
.LBB19_10:
	s_min_u32 s12, s21, s16
	s_add_i32 s6, s12, s17
	s_min_u32 s13, s6, s16
	s_min_u32 s6, s22, s12
	s_add_i32 s22, s22, s12
	v_subrev_u32_e32 v0, s22, v4
	v_add_u32_e32 v4, s6, v0
	s_and_b64 vcc, exec, s[18:19]
	s_cbranch_vccz .LBB19_18
; %bb.11:
                                        ; implicit-def: $vgpr0_vgpr1
	s_and_saveexec_b64 s[6:7], s[2:3]
	s_cbranch_execz .LBB19_17
; %bb.12:
	s_cmp_ge_u32 s21, s13
	v_mov_b32_e32 v0, s12
	s_cbranch_scc1 .LBB19_16
; %bb.13:
	s_mov_b64 s[2:3], 0
	v_mov_b32_e32 v1, s13
	v_mov_b32_e32 v0, s12
.LBB19_14:                              ; =>This Inner Loop Header: Depth=1
	v_add_u32_e32 v5, v0, v1
	v_and_b32_e32 v7, -2, v5
	global_load_ushort v7, v7, s[8:9]
	v_lshrrev_b32_e32 v5, 1, v5
	v_add_u32_e32 v8, 1, v5
	s_waitcnt vmcnt(0)
	v_cmp_gt_u16_e32 vcc, v6, v7
	v_cndmask_b32_e64 v9, 0, 1, vcc
	v_cmp_le_u16_e32 vcc, v7, v6
	v_cndmask_b32_e64 v7, 0, 1, vcc
	v_cndmask_b32_e64 v7, v7, v9, s[0:1]
	v_and_b32_e32 v7, 1, v7
	v_cmp_eq_u32_e32 vcc, 1, v7
	v_cndmask_b32_e32 v1, v5, v1, vcc
	v_cndmask_b32_e32 v0, v0, v8, vcc
	v_cmp_ge_u32_e32 vcc, v0, v1
	s_or_b64 s[2:3], vcc, s[2:3]
	s_andn2_b64 exec, exec, s[2:3]
	s_cbranch_execnz .LBB19_14
; %bb.15:
	s_or_b64 exec, exec, s[2:3]
.LBB19_16:
	v_add_u32_e32 v0, v0, v4
	v_mov_b32_e32 v1, 0
	v_lshlrev_b64 v[8:9], 1, v[0:1]
	v_mov_b32_e32 v5, s11
	v_add_co_u32_e32 v8, vcc, s10, v8
	v_addc_co_u32_e32 v9, vcc, v5, v9, vcc
	v_lshlrev_b64 v[0:1], 3, v[0:1]
	v_mov_b32_e32 v5, s15
	v_add_co_u32_e32 v0, vcc, s14, v0
	s_waitcnt vmcnt(0)
	global_store_short v[8:9], v6, off
	v_addc_co_u32_e32 v1, vcc, v5, v1, vcc
	s_or_b64 s[4:5], s[4:5], exec
.LBB19_17:
	s_or_b64 exec, exec, s[6:7]
	s_branch .LBB19_24
.LBB19_18:
                                        ; implicit-def: $vgpr0_vgpr1
	s_cbranch_execz .LBB19_24
; %bb.19:
	s_cmp_ge_u32 s21, s13
	v_mov_b32_e32 v0, s12
	s_cbranch_scc1 .LBB19_23
; %bb.20:
	s_mov_b64 s[2:3], 0
	v_mov_b32_e32 v1, s13
	v_mov_b32_e32 v0, s12
.LBB19_21:                              ; =>This Inner Loop Header: Depth=1
	v_add_u32_e32 v5, v0, v1
	v_and_b32_e32 v7, -2, v5
	global_load_ushort v7, v7, s[8:9]
	v_lshrrev_b32_e32 v5, 1, v5
	v_add_u32_e32 v8, 1, v5
	s_waitcnt vmcnt(0)
	v_cmp_gt_u16_e32 vcc, v6, v7
	v_cndmask_b32_e64 v9, 0, 1, vcc
	v_cmp_le_u16_e32 vcc, v7, v6
	v_cndmask_b32_e64 v7, 0, 1, vcc
	v_cndmask_b32_e64 v7, v7, v9, s[0:1]
	v_and_b32_e32 v7, 1, v7
	v_cmp_eq_u32_e32 vcc, 1, v7
	v_cndmask_b32_e32 v1, v5, v1, vcc
	v_cndmask_b32_e32 v0, v0, v8, vcc
	v_cmp_ge_u32_e32 vcc, v0, v1
	s_or_b64 s[2:3], vcc, s[2:3]
	s_andn2_b64 exec, exec, s[2:3]
	s_cbranch_execnz .LBB19_21
; %bb.22:
	s_or_b64 exec, exec, s[2:3]
.LBB19_23:
	v_add_u32_e32 v0, v0, v4
	v_mov_b32_e32 v1, 0
	v_lshlrev_b64 v[4:5], 1, v[0:1]
	v_mov_b32_e32 v7, s11
	v_add_co_u32_e32 v4, vcc, s10, v4
	v_addc_co_u32_e32 v5, vcc, v7, v5, vcc
	v_lshlrev_b64 v[0:1], 3, v[0:1]
	s_waitcnt vmcnt(0)
	global_store_short v[4:5], v6, off
	v_mov_b32_e32 v4, s15
	v_add_co_u32_e32 v0, vcc, s14, v0
	v_addc_co_u32_e32 v1, vcc, v4, v1, vcc
	s_mov_b64 s[4:5], -1
.LBB19_24:
	s_and_b64 exec, exec, s[4:5]
	s_cbranch_execz .LBB19_26
; %bb.25:
	s_waitcnt vmcnt(1)
	global_store_dwordx2 v[0:1], v[2:3], off
.LBB19_26:
	s_endpgm
	.section	.rodata,"a",@progbits
	.p2align	6, 0x0
	.amdhsa_kernel _ZN7rocprim17ROCPRIM_304000_NS6detail33device_block_merge_oddeven_kernelINS1_37wrapped_merge_sort_block_merge_configINS0_14default_configEtN2at4cuda3cub6detail10OpaqueTypeILi8EEEEEPtSC_PSA_SD_jNS1_19radix_merge_compareILb0ELb0EtNS0_19identity_decomposerEEEEEvT0_T1_T2_T3_T4_SL_T5_
		.amdhsa_group_segment_fixed_size 0
		.amdhsa_private_segment_fixed_size 0
		.amdhsa_kernarg_size 44
		.amdhsa_user_sgpr_count 6
		.amdhsa_user_sgpr_private_segment_buffer 1
		.amdhsa_user_sgpr_dispatch_ptr 0
		.amdhsa_user_sgpr_queue_ptr 0
		.amdhsa_user_sgpr_kernarg_segment_ptr 1
		.amdhsa_user_sgpr_dispatch_id 0
		.amdhsa_user_sgpr_flat_scratch_init 0
		.amdhsa_user_sgpr_kernarg_preload_length 0
		.amdhsa_user_sgpr_kernarg_preload_offset 0
		.amdhsa_user_sgpr_private_segment_size 0
		.amdhsa_uses_dynamic_stack 0
		.amdhsa_system_sgpr_private_segment_wavefront_offset 0
		.amdhsa_system_sgpr_workgroup_id_x 1
		.amdhsa_system_sgpr_workgroup_id_y 0
		.amdhsa_system_sgpr_workgroup_id_z 0
		.amdhsa_system_sgpr_workgroup_info 0
		.amdhsa_system_vgpr_workitem_id 0
		.amdhsa_next_free_vgpr 10
		.amdhsa_next_free_sgpr 23
		.amdhsa_accum_offset 12
		.amdhsa_reserve_vcc 1
		.amdhsa_reserve_flat_scratch 0
		.amdhsa_float_round_mode_32 0
		.amdhsa_float_round_mode_16_64 0
		.amdhsa_float_denorm_mode_32 3
		.amdhsa_float_denorm_mode_16_64 3
		.amdhsa_dx10_clamp 1
		.amdhsa_ieee_mode 1
		.amdhsa_fp16_overflow 0
		.amdhsa_tg_split 0
		.amdhsa_exception_fp_ieee_invalid_op 0
		.amdhsa_exception_fp_denorm_src 0
		.amdhsa_exception_fp_ieee_div_zero 0
		.amdhsa_exception_fp_ieee_overflow 0
		.amdhsa_exception_fp_ieee_underflow 0
		.amdhsa_exception_fp_ieee_inexact 0
		.amdhsa_exception_int_div_zero 0
	.end_amdhsa_kernel
	.section	.text._ZN7rocprim17ROCPRIM_304000_NS6detail33device_block_merge_oddeven_kernelINS1_37wrapped_merge_sort_block_merge_configINS0_14default_configEtN2at4cuda3cub6detail10OpaqueTypeILi8EEEEEPtSC_PSA_SD_jNS1_19radix_merge_compareILb0ELb0EtNS0_19identity_decomposerEEEEEvT0_T1_T2_T3_T4_SL_T5_,"axG",@progbits,_ZN7rocprim17ROCPRIM_304000_NS6detail33device_block_merge_oddeven_kernelINS1_37wrapped_merge_sort_block_merge_configINS0_14default_configEtN2at4cuda3cub6detail10OpaqueTypeILi8EEEEEPtSC_PSA_SD_jNS1_19radix_merge_compareILb0ELb0EtNS0_19identity_decomposerEEEEEvT0_T1_T2_T3_T4_SL_T5_,comdat
.Lfunc_end19:
	.size	_ZN7rocprim17ROCPRIM_304000_NS6detail33device_block_merge_oddeven_kernelINS1_37wrapped_merge_sort_block_merge_configINS0_14default_configEtN2at4cuda3cub6detail10OpaqueTypeILi8EEEEEPtSC_PSA_SD_jNS1_19radix_merge_compareILb0ELb0EtNS0_19identity_decomposerEEEEEvT0_T1_T2_T3_T4_SL_T5_, .Lfunc_end19-_ZN7rocprim17ROCPRIM_304000_NS6detail33device_block_merge_oddeven_kernelINS1_37wrapped_merge_sort_block_merge_configINS0_14default_configEtN2at4cuda3cub6detail10OpaqueTypeILi8EEEEEPtSC_PSA_SD_jNS1_19radix_merge_compareILb0ELb0EtNS0_19identity_decomposerEEEEEvT0_T1_T2_T3_T4_SL_T5_
                                        ; -- End function
	.section	.AMDGPU.csdata,"",@progbits
; Kernel info:
; codeLenInByte = 816
; NumSgprs: 27
; NumVgprs: 10
; NumAgprs: 0
; TotalNumVgprs: 10
; ScratchSize: 0
; MemoryBound: 0
; FloatMode: 240
; IeeeMode: 1
; LDSByteSize: 0 bytes/workgroup (compile time only)
; SGPRBlocks: 3
; VGPRBlocks: 1
; NumSGPRsForWavesPerEU: 27
; NumVGPRsForWavesPerEU: 10
; AccumOffset: 12
; Occupancy: 8
; WaveLimiterHint : 0
; COMPUTE_PGM_RSRC2:SCRATCH_EN: 0
; COMPUTE_PGM_RSRC2:USER_SGPR: 6
; COMPUTE_PGM_RSRC2:TRAP_HANDLER: 0
; COMPUTE_PGM_RSRC2:TGID_X_EN: 1
; COMPUTE_PGM_RSRC2:TGID_Y_EN: 0
; COMPUTE_PGM_RSRC2:TGID_Z_EN: 0
; COMPUTE_PGM_RSRC2:TIDIG_COMP_CNT: 0
; COMPUTE_PGM_RSRC3_GFX90A:ACCUM_OFFSET: 2
; COMPUTE_PGM_RSRC3_GFX90A:TG_SPLIT: 0
	.section	.text._ZN7rocprim17ROCPRIM_304000_NS6detail45device_block_merge_mergepath_partition_kernelINS1_37wrapped_merge_sort_block_merge_configINS0_14default_configEtN2at4cuda3cub6detail10OpaqueTypeILi8EEEEEPtjNS1_19radix_merge_compareILb0ELb1EtNS0_19identity_decomposerEEEEEvT0_T1_jPSH_T2_SH_,"axG",@progbits,_ZN7rocprim17ROCPRIM_304000_NS6detail45device_block_merge_mergepath_partition_kernelINS1_37wrapped_merge_sort_block_merge_configINS0_14default_configEtN2at4cuda3cub6detail10OpaqueTypeILi8EEEEEPtjNS1_19radix_merge_compareILb0ELb1EtNS0_19identity_decomposerEEEEEvT0_T1_jPSH_T2_SH_,comdat
	.protected	_ZN7rocprim17ROCPRIM_304000_NS6detail45device_block_merge_mergepath_partition_kernelINS1_37wrapped_merge_sort_block_merge_configINS0_14default_configEtN2at4cuda3cub6detail10OpaqueTypeILi8EEEEEPtjNS1_19radix_merge_compareILb0ELb1EtNS0_19identity_decomposerEEEEEvT0_T1_jPSH_T2_SH_ ; -- Begin function _ZN7rocprim17ROCPRIM_304000_NS6detail45device_block_merge_mergepath_partition_kernelINS1_37wrapped_merge_sort_block_merge_configINS0_14default_configEtN2at4cuda3cub6detail10OpaqueTypeILi8EEEEEPtjNS1_19radix_merge_compareILb0ELb1EtNS0_19identity_decomposerEEEEEvT0_T1_jPSH_T2_SH_
	.globl	_ZN7rocprim17ROCPRIM_304000_NS6detail45device_block_merge_mergepath_partition_kernelINS1_37wrapped_merge_sort_block_merge_configINS0_14default_configEtN2at4cuda3cub6detail10OpaqueTypeILi8EEEEEPtjNS1_19radix_merge_compareILb0ELb1EtNS0_19identity_decomposerEEEEEvT0_T1_jPSH_T2_SH_
	.p2align	8
	.type	_ZN7rocprim17ROCPRIM_304000_NS6detail45device_block_merge_mergepath_partition_kernelINS1_37wrapped_merge_sort_block_merge_configINS0_14default_configEtN2at4cuda3cub6detail10OpaqueTypeILi8EEEEEPtjNS1_19radix_merge_compareILb0ELb1EtNS0_19identity_decomposerEEEEEvT0_T1_jPSH_T2_SH_,@function
_ZN7rocprim17ROCPRIM_304000_NS6detail45device_block_merge_mergepath_partition_kernelINS1_37wrapped_merge_sort_block_merge_configINS0_14default_configEtN2at4cuda3cub6detail10OpaqueTypeILi8EEEEEPtjNS1_19radix_merge_compareILb0ELb1EtNS0_19identity_decomposerEEEEEvT0_T1_jPSH_T2_SH_: ; @_ZN7rocprim17ROCPRIM_304000_NS6detail45device_block_merge_mergepath_partition_kernelINS1_37wrapped_merge_sort_block_merge_configINS0_14default_configEtN2at4cuda3cub6detail10OpaqueTypeILi8EEEEEPtjNS1_19radix_merge_compareILb0ELb1EtNS0_19identity_decomposerEEEEEvT0_T1_jPSH_T2_SH_
; %bb.0:
	s_load_dwordx2 s[2:3], s[4:5], 0x8
	v_lshl_or_b32 v0, s6, 7, v0
	s_waitcnt lgkmcnt(0)
	v_cmp_gt_u32_e32 vcc, s3, v0
	s_and_saveexec_b64 s[0:1], vcc
	s_cbranch_execz .LBB20_6
; %bb.1:
	s_load_dwordx2 s[0:1], s[4:5], 0x18
	s_waitcnt lgkmcnt(0)
	s_lshr_b32 s3, s1, 9
	s_and_b32 s3, s3, 0x7ffffe
	s_add_i32 s6, s3, -1
	s_sub_i32 s3, 0, s3
	v_and_b32_e32 v1, s3, v0
	v_and_b32_e32 v2, s6, v0
	v_lshlrev_b32_e32 v1, 10, v1
	v_lshlrev_b32_e32 v3, 10, v2
	v_min_u32_e32 v2, s2, v1
	v_add_u32_e32 v1, s1, v1
	v_min_u32_e32 v4, s2, v1
	v_add_u32_e32 v1, s1, v4
	v_min_u32_e32 v1, s2, v1
	v_sub_u32_e32 v5, v1, v2
	v_min_u32_e32 v6, v5, v3
	v_sub_u32_e32 v3, v4, v2
	v_sub_u32_e32 v1, v1, v4
	v_sub_u32_e64 v1, v6, v1 clamp
	v_min_u32_e32 v7, v6, v3
	v_cmp_lt_u32_e32 vcc, v1, v7
	s_and_saveexec_b64 s[2:3], vcc
	s_cbranch_execz .LBB20_5
; %bb.2:
	s_load_dwordx2 s[6:7], s[4:5], 0x0
	v_mov_b32_e32 v5, 0
	v_mov_b32_e32 v3, v5
	v_lshlrev_b64 v[8:9], 1, v[2:3]
	v_lshlrev_b64 v[10:11], 1, v[4:5]
	s_waitcnt lgkmcnt(0)
	v_mov_b32_e32 v12, s7
	v_add_co_u32_e32 v3, vcc, s6, v8
	v_addc_co_u32_e32 v8, vcc, v12, v9, vcc
	v_add_co_u32_e32 v9, vcc, s6, v10
	v_addc_co_u32_e32 v10, vcc, v12, v11, vcc
	s_mov_b64 s[6:7], 0
.LBB20_3:                               ; =>This Inner Loop Header: Depth=1
	v_add_u32_e32 v4, v7, v1
	v_and_b32_e32 v12, -2, v4
	v_lshrrev_b32_e32 v11, 1, v4
	v_add_co_u32_e32 v12, vcc, v3, v12
	v_xad_u32 v4, v11, -1, v6
	v_addc_co_u32_e32 v13, vcc, 0, v8, vcc
	global_load_ushort v14, v[12:13], off
	v_lshlrev_b64 v[12:13], 1, v[4:5]
	v_add_co_u32_e32 v12, vcc, v9, v12
	v_addc_co_u32_e32 v13, vcc, v10, v13, vcc
	global_load_ushort v4, v[12:13], off
	v_add_u32_e32 v12, 1, v11
	s_waitcnt vmcnt(1)
	v_and_b32_e32 v13, s0, v14
	s_waitcnt vmcnt(0)
	v_and_b32_e32 v4, s0, v4
	v_cmp_gt_u16_e32 vcc, v13, v4
	v_cndmask_b32_e32 v7, v7, v11, vcc
	v_cndmask_b32_e32 v1, v12, v1, vcc
	v_cmp_ge_u32_e32 vcc, v1, v7
	s_or_b64 s[6:7], vcc, s[6:7]
	s_andn2_b64 exec, exec, s[6:7]
	s_cbranch_execnz .LBB20_3
; %bb.4:
	s_or_b64 exec, exec, s[6:7]
.LBB20_5:
	s_or_b64 exec, exec, s[2:3]
	s_load_dwordx2 s[0:1], s[4:5], 0x10
	v_add_u32_e32 v2, v1, v2
	v_mov_b32_e32 v1, 0
	v_lshlrev_b64 v[0:1], 2, v[0:1]
	s_waitcnt lgkmcnt(0)
	v_mov_b32_e32 v3, s1
	v_add_co_u32_e32 v0, vcc, s0, v0
	v_addc_co_u32_e32 v1, vcc, v3, v1, vcc
	global_store_dword v[0:1], v2, off
.LBB20_6:
	s_endpgm
	.section	.rodata,"a",@progbits
	.p2align	6, 0x0
	.amdhsa_kernel _ZN7rocprim17ROCPRIM_304000_NS6detail45device_block_merge_mergepath_partition_kernelINS1_37wrapped_merge_sort_block_merge_configINS0_14default_configEtN2at4cuda3cub6detail10OpaqueTypeILi8EEEEEPtjNS1_19radix_merge_compareILb0ELb1EtNS0_19identity_decomposerEEEEEvT0_T1_jPSH_T2_SH_
		.amdhsa_group_segment_fixed_size 0
		.amdhsa_private_segment_fixed_size 0
		.amdhsa_kernarg_size 32
		.amdhsa_user_sgpr_count 6
		.amdhsa_user_sgpr_private_segment_buffer 1
		.amdhsa_user_sgpr_dispatch_ptr 0
		.amdhsa_user_sgpr_queue_ptr 0
		.amdhsa_user_sgpr_kernarg_segment_ptr 1
		.amdhsa_user_sgpr_dispatch_id 0
		.amdhsa_user_sgpr_flat_scratch_init 0
		.amdhsa_user_sgpr_kernarg_preload_length 0
		.amdhsa_user_sgpr_kernarg_preload_offset 0
		.amdhsa_user_sgpr_private_segment_size 0
		.amdhsa_uses_dynamic_stack 0
		.amdhsa_system_sgpr_private_segment_wavefront_offset 0
		.amdhsa_system_sgpr_workgroup_id_x 1
		.amdhsa_system_sgpr_workgroup_id_y 0
		.amdhsa_system_sgpr_workgroup_id_z 0
		.amdhsa_system_sgpr_workgroup_info 0
		.amdhsa_system_vgpr_workitem_id 0
		.amdhsa_next_free_vgpr 15
		.amdhsa_next_free_sgpr 8
		.amdhsa_accum_offset 16
		.amdhsa_reserve_vcc 1
		.amdhsa_reserve_flat_scratch 0
		.amdhsa_float_round_mode_32 0
		.amdhsa_float_round_mode_16_64 0
		.amdhsa_float_denorm_mode_32 3
		.amdhsa_float_denorm_mode_16_64 3
		.amdhsa_dx10_clamp 1
		.amdhsa_ieee_mode 1
		.amdhsa_fp16_overflow 0
		.amdhsa_tg_split 0
		.amdhsa_exception_fp_ieee_invalid_op 0
		.amdhsa_exception_fp_denorm_src 0
		.amdhsa_exception_fp_ieee_div_zero 0
		.amdhsa_exception_fp_ieee_overflow 0
		.amdhsa_exception_fp_ieee_underflow 0
		.amdhsa_exception_fp_ieee_inexact 0
		.amdhsa_exception_int_div_zero 0
	.end_amdhsa_kernel
	.section	.text._ZN7rocprim17ROCPRIM_304000_NS6detail45device_block_merge_mergepath_partition_kernelINS1_37wrapped_merge_sort_block_merge_configINS0_14default_configEtN2at4cuda3cub6detail10OpaqueTypeILi8EEEEEPtjNS1_19radix_merge_compareILb0ELb1EtNS0_19identity_decomposerEEEEEvT0_T1_jPSH_T2_SH_,"axG",@progbits,_ZN7rocprim17ROCPRIM_304000_NS6detail45device_block_merge_mergepath_partition_kernelINS1_37wrapped_merge_sort_block_merge_configINS0_14default_configEtN2at4cuda3cub6detail10OpaqueTypeILi8EEEEEPtjNS1_19radix_merge_compareILb0ELb1EtNS0_19identity_decomposerEEEEEvT0_T1_jPSH_T2_SH_,comdat
.Lfunc_end20:
	.size	_ZN7rocprim17ROCPRIM_304000_NS6detail45device_block_merge_mergepath_partition_kernelINS1_37wrapped_merge_sort_block_merge_configINS0_14default_configEtN2at4cuda3cub6detail10OpaqueTypeILi8EEEEEPtjNS1_19radix_merge_compareILb0ELb1EtNS0_19identity_decomposerEEEEEvT0_T1_jPSH_T2_SH_, .Lfunc_end20-_ZN7rocprim17ROCPRIM_304000_NS6detail45device_block_merge_mergepath_partition_kernelINS1_37wrapped_merge_sort_block_merge_configINS0_14default_configEtN2at4cuda3cub6detail10OpaqueTypeILi8EEEEEPtjNS1_19radix_merge_compareILb0ELb1EtNS0_19identity_decomposerEEEEEvT0_T1_jPSH_T2_SH_
                                        ; -- End function
	.section	.AMDGPU.csdata,"",@progbits
; Kernel info:
; codeLenInByte = 368
; NumSgprs: 12
; NumVgprs: 15
; NumAgprs: 0
; TotalNumVgprs: 15
; ScratchSize: 0
; MemoryBound: 0
; FloatMode: 240
; IeeeMode: 1
; LDSByteSize: 0 bytes/workgroup (compile time only)
; SGPRBlocks: 1
; VGPRBlocks: 1
; NumSGPRsForWavesPerEU: 12
; NumVGPRsForWavesPerEU: 15
; AccumOffset: 16
; Occupancy: 8
; WaveLimiterHint : 0
; COMPUTE_PGM_RSRC2:SCRATCH_EN: 0
; COMPUTE_PGM_RSRC2:USER_SGPR: 6
; COMPUTE_PGM_RSRC2:TRAP_HANDLER: 0
; COMPUTE_PGM_RSRC2:TGID_X_EN: 1
; COMPUTE_PGM_RSRC2:TGID_Y_EN: 0
; COMPUTE_PGM_RSRC2:TGID_Z_EN: 0
; COMPUTE_PGM_RSRC2:TIDIG_COMP_CNT: 0
; COMPUTE_PGM_RSRC3_GFX90A:ACCUM_OFFSET: 3
; COMPUTE_PGM_RSRC3_GFX90A:TG_SPLIT: 0
	.section	.text._ZN7rocprim17ROCPRIM_304000_NS6detail35device_block_merge_mergepath_kernelINS1_37wrapped_merge_sort_block_merge_configINS0_14default_configEtN2at4cuda3cub6detail10OpaqueTypeILi8EEEEEPtSC_PSA_SD_jNS1_19radix_merge_compareILb0ELb1EtNS0_19identity_decomposerEEEEEvT0_T1_T2_T3_T4_SL_jT5_PKSL_NS1_7vsmem_tE,"axG",@progbits,_ZN7rocprim17ROCPRIM_304000_NS6detail35device_block_merge_mergepath_kernelINS1_37wrapped_merge_sort_block_merge_configINS0_14default_configEtN2at4cuda3cub6detail10OpaqueTypeILi8EEEEEPtSC_PSA_SD_jNS1_19radix_merge_compareILb0ELb1EtNS0_19identity_decomposerEEEEEvT0_T1_T2_T3_T4_SL_jT5_PKSL_NS1_7vsmem_tE,comdat
	.protected	_ZN7rocprim17ROCPRIM_304000_NS6detail35device_block_merge_mergepath_kernelINS1_37wrapped_merge_sort_block_merge_configINS0_14default_configEtN2at4cuda3cub6detail10OpaqueTypeILi8EEEEEPtSC_PSA_SD_jNS1_19radix_merge_compareILb0ELb1EtNS0_19identity_decomposerEEEEEvT0_T1_T2_T3_T4_SL_jT5_PKSL_NS1_7vsmem_tE ; -- Begin function _ZN7rocprim17ROCPRIM_304000_NS6detail35device_block_merge_mergepath_kernelINS1_37wrapped_merge_sort_block_merge_configINS0_14default_configEtN2at4cuda3cub6detail10OpaqueTypeILi8EEEEEPtSC_PSA_SD_jNS1_19radix_merge_compareILb0ELb1EtNS0_19identity_decomposerEEEEEvT0_T1_T2_T3_T4_SL_jT5_PKSL_NS1_7vsmem_tE
	.globl	_ZN7rocprim17ROCPRIM_304000_NS6detail35device_block_merge_mergepath_kernelINS1_37wrapped_merge_sort_block_merge_configINS0_14default_configEtN2at4cuda3cub6detail10OpaqueTypeILi8EEEEEPtSC_PSA_SD_jNS1_19radix_merge_compareILb0ELb1EtNS0_19identity_decomposerEEEEEvT0_T1_T2_T3_T4_SL_jT5_PKSL_NS1_7vsmem_tE
	.p2align	8
	.type	_ZN7rocprim17ROCPRIM_304000_NS6detail35device_block_merge_mergepath_kernelINS1_37wrapped_merge_sort_block_merge_configINS0_14default_configEtN2at4cuda3cub6detail10OpaqueTypeILi8EEEEEPtSC_PSA_SD_jNS1_19radix_merge_compareILb0ELb1EtNS0_19identity_decomposerEEEEEvT0_T1_T2_T3_T4_SL_jT5_PKSL_NS1_7vsmem_tE,@function
_ZN7rocprim17ROCPRIM_304000_NS6detail35device_block_merge_mergepath_kernelINS1_37wrapped_merge_sort_block_merge_configINS0_14default_configEtN2at4cuda3cub6detail10OpaqueTypeILi8EEEEEPtSC_PSA_SD_jNS1_19radix_merge_compareILb0ELb1EtNS0_19identity_decomposerEEEEEvT0_T1_T2_T3_T4_SL_jT5_PKSL_NS1_7vsmem_tE: ; @_ZN7rocprim17ROCPRIM_304000_NS6detail35device_block_merge_mergepath_kernelINS1_37wrapped_merge_sort_block_merge_configINS0_14default_configEtN2at4cuda3cub6detail10OpaqueTypeILi8EEEEEPtSC_PSA_SD_jNS1_19radix_merge_compareILb0ELb1EtNS0_19identity_decomposerEEEEEvT0_T1_T2_T3_T4_SL_jT5_PKSL_NS1_7vsmem_tE
; %bb.0:
	s_load_dwordx2 s[26:27], s[4:5], 0x40
	s_load_dwordx4 s[16:19], s[4:5], 0x20
	s_add_u32 s2, s4, 64
	s_addc_u32 s3, s5, 0
	s_waitcnt lgkmcnt(0)
	s_mul_i32 s0, s27, s8
	s_add_i32 s0, s0, s7
	s_mul_i32 s0, s0, s26
	s_add_i32 s0, s0, s6
	s_cmp_ge_u32 s0, s18
	s_cbranch_scc1 .LBB21_69
; %bb.1:
	s_load_dwordx8 s[8:15], s[4:5], 0x0
	s_load_dwordx2 s[22:23], s[4:5], 0x30
	s_lshr_b32 s30, s16, 10
	s_cmp_lg_u32 s0, s30
	s_mov_b32 s1, 0
	s_cselect_b64 s[20:21], -1, 0
	s_lshl_b64 s[4:5], s[0:1], 2
	s_waitcnt lgkmcnt(0)
	s_add_u32 s4, s22, s4
	s_addc_u32 s5, s23, s5
	s_load_dwordx2 s[22:23], s[4:5], 0x0
	s_lshr_b32 s4, s17, 9
	s_and_b32 s4, s4, 0x7ffffe
	s_sub_i32 s4, 0, s4
	s_and_b32 s5, s0, s4
	s_lshl_b32 s7, s5, 10
	s_lshl_b32 s18, s0, 10
	;; [unrolled: 1-line block ×3, first 2 shown]
	s_sub_i32 s24, s18, s7
	s_add_i32 s5, s5, s17
	s_add_i32 s25, s5, s24
	s_waitcnt lgkmcnt(0)
	s_sub_i32 s24, s25, s22
	s_sub_i32 s25, s25, s23
	;; [unrolled: 1-line block ×3, first 2 shown]
	s_min_u32 s24, s16, s24
	s_addk_i32 s25, 0x400
	s_or_b32 s4, s0, s4
	s_min_u32 s7, s16, s5
	s_add_i32 s5, s5, s17
	s_cmp_eq_u32 s4, -1
	s_cselect_b32 s4, s5, s25
	s_cselect_b32 s5, s7, s23
	s_min_u32 s4, s4, s16
	s_mov_b32 s23, s1
	s_sub_i32 s27, s5, s22
	s_sub_i32 s28, s4, s24
	s_lshl_b64 s[4:5], s[22:23], 1
	s_add_u32 s7, s8, s4
	s_mov_b32 s25, s1
	s_addc_u32 s29, s9, s5
	s_lshl_b64 s[4:5], s[24:25], 1
	s_add_u32 s4, s8, s4
	s_addc_u32 s5, s9, s5
	s_cmp_lt_u32 s6, s26
	v_mov_b32_e32 v3, 0
	s_cselect_b32 s1, 12, 18
	global_load_dword v1, v3, s[2:3] offset:14
	s_add_u32 s2, s2, s1
	s_addc_u32 s3, s3, 0
	global_load_ushort v2, v3, s[2:3]
	v_cmp_gt_u32_e32 vcc, s27, v0
	s_cmp_eq_u32 s0, s30
	s_waitcnt vmcnt(1)
	v_lshrrev_b32_e32 v4, 16, v1
	v_and_b32_e32 v1, 0xffff, v1
	v_mul_lo_u32 v1, v1, v4
	s_waitcnt vmcnt(0)
	v_mul_lo_u32 v8, v1, v2
	v_add_u32_e32 v6, v8, v0
	v_lshlrev_b32_e32 v1, 1, v0
	v_add_u32_e32 v4, v6, v8
	s_cbranch_scc1 .LBB21_3
; %bb.2:
	v_mov_b32_e32 v2, s29
	v_add_co_u32_e64 v5, s[0:1], s7, v1
	v_addc_co_u32_e64 v7, s[0:1], 0, v2, s[0:1]
	v_subrev_u32_e32 v2, s27, v0
	v_lshlrev_b64 v[10:11], 1, v[2:3]
	v_mov_b32_e32 v2, s5
	v_add_co_u32_e64 v9, s[0:1], s4, v10
	v_addc_co_u32_e64 v2, s[0:1], v2, v11, s[0:1]
	v_cndmask_b32_e32 v11, v2, v7, vcc
	v_cndmask_b32_e32 v10, v9, v5, vcc
	v_mov_b32_e32 v7, v3
	global_load_ushort v9, v[10:11], off
	v_lshlrev_b64 v[10:11], 1, v[6:7]
	v_mov_b32_e32 v2, s29
	v_add_co_u32_e32 v5, vcc, s7, v10
	v_addc_co_u32_e32 v7, vcc, v2, v11, vcc
	v_subrev_u32_e32 v2, s27, v6
	v_lshlrev_b64 v[10:11], 1, v[2:3]
	v_mov_b32_e32 v2, s5
	v_add_co_u32_e32 v10, vcc, s4, v10
	v_addc_co_u32_e32 v2, vcc, v2, v11, vcc
	v_cmp_gt_u32_e32 vcc, s27, v6
	v_cndmask_b32_e32 v11, v2, v7, vcc
	v_cndmask_b32_e32 v10, v10, v5, vcc
	v_mov_b32_e32 v5, v3
	global_load_ushort v7, v[10:11], off
	v_lshlrev_b64 v[10:11], 1, v[4:5]
	v_mov_b32_e32 v2, s29
	v_add_co_u32_e32 v5, vcc, s7, v10
	v_addc_co_u32_e32 v12, vcc, v2, v11, vcc
	v_subrev_u32_e32 v2, s27, v4
	v_lshlrev_b64 v[10:11], 1, v[2:3]
	v_mov_b32_e32 v2, s5
	v_add_co_u32_e32 v10, vcc, s4, v10
	v_addc_co_u32_e32 v2, vcc, v2, v11, vcc
	v_cmp_gt_u32_e32 vcc, s27, v4
	v_cndmask_b32_e32 v11, v2, v12, vcc
	v_cndmask_b32_e32 v10, v10, v5, vcc
	v_add_u32_e32 v2, v4, v8
	global_load_ushort v5, v[10:11], off
	v_lshlrev_b64 v[10:11], 1, v[2:3]
	v_mov_b32_e32 v12, s29
	v_add_co_u32_e32 v10, vcc, s7, v10
	v_addc_co_u32_e32 v11, vcc, v12, v11, vcc
	v_cmp_gt_u32_e32 vcc, s27, v2
	v_subrev_u32_e32 v2, s27, v2
	v_lshlrev_b64 v[2:3], 1, v[2:3]
	v_mov_b32_e32 v12, s5
	v_add_co_u32_e64 v2, s[0:1], s4, v2
	v_addc_co_u32_e64 v3, s[0:1], v12, v3, s[0:1]
	v_cndmask_b32_e32 v3, v3, v11, vcc
	v_cndmask_b32_e32 v2, v2, v10, vcc
	global_load_ushort v3, v[2:3], off
	s_mov_b32 s0, 0x5040100
	s_add_i32 s17, s28, s27
	s_waitcnt vmcnt(2)
	v_perm_b32 v2, v7, v9, s0
	s_waitcnt vmcnt(0)
	v_perm_b32 v3, v3, v5, s0
	s_cbranch_execz .LBB21_4
	s_branch .LBB21_11
.LBB21_3:
                                        ; implicit-def: $vgpr2_vgpr3
                                        ; implicit-def: $sgpr17
.LBB21_4:
	s_add_i32 s17, s28, s27
	v_cmp_gt_u32_e32 vcc, s17, v0
                                        ; implicit-def: $vgpr2_vgpr3
	s_and_saveexec_b64 s[0:1], vcc
	s_cbranch_execnz .LBB21_70
; %bb.5:
	s_or_b64 exec, exec, s[0:1]
	v_cmp_gt_u32_e32 vcc, s17, v6
	s_and_saveexec_b64 s[2:3], vcc
	s_cbranch_execnz .LBB21_71
.LBB21_6:
	s_or_b64 exec, exec, s[2:3]
	v_cmp_gt_u32_e32 vcc, s17, v4
	s_and_saveexec_b64 s[0:1], vcc
	s_cbranch_execz .LBB21_8
.LBB21_7:
	v_mov_b32_e32 v5, 0
	v_lshlrev_b64 v[6:7], 1, v[4:5]
	v_mov_b32_e32 v9, s29
	v_add_co_u32_e32 v10, vcc, s7, v6
	v_addc_co_u32_e32 v9, vcc, v9, v7, vcc
	v_subrev_u32_e32 v6, s27, v4
	v_mov_b32_e32 v7, v5
	v_lshlrev_b64 v[6:7], 1, v[6:7]
	v_mov_b32_e32 v5, s5
	v_add_co_u32_e32 v6, vcc, s4, v6
	v_addc_co_u32_e32 v5, vcc, v5, v7, vcc
	v_cmp_gt_u32_e32 vcc, s27, v4
	v_cndmask_b32_e32 v7, v5, v9, vcc
	v_cndmask_b32_e32 v6, v6, v10, vcc
	global_load_ushort v5, v[6:7], off
	s_mov_b32 s2, 0xffff
	s_waitcnt vmcnt(0)
	v_bfi_b32 v3, s2, v5, v3
.LBB21_8:
	s_or_b64 exec, exec, s[0:1]
	v_add_u32_e32 v4, v4, v8
	v_cmp_gt_u32_e32 vcc, s17, v4
	s_and_saveexec_b64 s[2:3], vcc
	s_cbranch_execz .LBB21_10
; %bb.9:
	v_mov_b32_e32 v5, 0
	v_lshlrev_b64 v[6:7], 1, v[4:5]
	v_mov_b32_e32 v8, s29
	v_add_co_u32_e32 v6, vcc, s7, v6
	v_addc_co_u32_e32 v7, vcc, v8, v7, vcc
	v_cmp_gt_u32_e32 vcc, s27, v4
	v_subrev_u32_e32 v4, s27, v4
	v_lshlrev_b64 v[4:5], 1, v[4:5]
	v_mov_b32_e32 v8, s5
	v_add_co_u32_e64 v4, s[0:1], s4, v4
	v_addc_co_u32_e64 v5, s[0:1], v8, v5, s[0:1]
	v_cndmask_b32_e32 v5, v5, v7, vcc
	v_cndmask_b32_e32 v4, v4, v6, vcc
	global_load_ushort v4, v[4:5], off
	s_mov_b32 s0, 0x5040100
	s_waitcnt vmcnt(0)
	v_perm_b32 v3, v4, v3, s0
.LBB21_10:
	s_or_b64 exec, exec, s[2:3]
.LBB21_11:
	v_lshlrev_b32_e32 v8, 2, v0
	v_min_u32_e32 v5, s17, v8
	v_sub_u32_e64 v4, v5, s28 clamp
	v_min_u32_e32 v6, s27, v5
	v_cmp_lt_u32_e32 vcc, v4, v6
	s_waitcnt vmcnt(0)
	ds_write_b16 v1, v2
	ds_write_b16_d16_hi v1, v2 offset:512
	ds_write_b16 v1, v3 offset:1024
	ds_write_b16_d16_hi v1, v3 offset:1536
	s_waitcnt lgkmcnt(0)
	s_barrier
	s_and_saveexec_b64 s[0:1], vcc
	s_cbranch_execz .LBB21_15
; %bb.12:
	v_lshlrev_b32_e32 v7, 1, v5
	v_lshl_add_u32 v7, s27, 1, v7
	s_mov_b64 s[2:3], 0
.LBB21_13:                              ; =>This Inner Loop Header: Depth=1
	v_add_u32_e32 v9, v6, v4
	v_lshrrev_b32_e32 v10, 1, v9
	v_not_b32_e32 v11, v10
	v_and_b32_e32 v9, -2, v9
	v_lshl_add_u32 v11, v11, 1, v7
	ds_read_u16 v9, v9
	ds_read_u16 v11, v11
	v_add_u32_e32 v12, 1, v10
	s_waitcnt lgkmcnt(1)
	v_and_b32_e32 v9, s19, v9
	s_waitcnt lgkmcnt(0)
	v_and_b32_e32 v11, s19, v11
	v_cmp_gt_u16_e32 vcc, v9, v11
	v_cndmask_b32_e32 v6, v6, v10, vcc
	v_cndmask_b32_e32 v4, v12, v4, vcc
	v_cmp_ge_u32_e32 vcc, v4, v6
	s_or_b64 s[2:3], vcc, s[2:3]
	s_andn2_b64 exec, exec, s[2:3]
	s_cbranch_execnz .LBB21_13
; %bb.14:
	s_or_b64 exec, exec, s[2:3]
.LBB21_15:
	s_or_b64 exec, exec, s[0:1]
	v_sub_u32_e32 v5, v5, v4
	v_add_u32_e32 v5, s27, v5
	v_cmp_ge_u32_e32 vcc, s27, v4
	v_cmp_ge_u32_e64 s[0:1], s17, v5
	s_or_b64 s[0:1], vcc, s[0:1]
                                        ; implicit-def: $vgpr9
                                        ; implicit-def: $vgpr10
                                        ; implicit-def: $vgpr11
                                        ; implicit-def: $vgpr12
	s_and_saveexec_b64 s[8:9], s[0:1]
	s_cbranch_execz .LBB21_21
; %bb.16:
	v_cmp_gt_u32_e32 vcc, s27, v4
                                        ; implicit-def: $vgpr2
	s_and_saveexec_b64 s[0:1], vcc
	s_cbranch_execz .LBB21_18
; %bb.17:
	v_lshlrev_b32_e32 v2, 1, v4
	ds_read_u16 v2, v2
.LBB21_18:
	s_or_b64 exec, exec, s[0:1]
	v_cmp_le_u32_e64 s[0:1], s17, v5
	v_cmp_gt_u32_e64 s[2:3], s17, v5
                                        ; implicit-def: $vgpr3
	s_and_saveexec_b64 s[4:5], s[2:3]
	s_cbranch_execz .LBB21_20
; %bb.19:
	v_lshlrev_b32_e32 v3, 1, v5
	ds_read_u16 v3, v3
.LBB21_20:
	s_or_b64 exec, exec, s[4:5]
	s_waitcnt lgkmcnt(0)
	v_and_b32_e32 v6, s19, v3
	v_and_b32_e32 v7, s19, v2
	v_cmp_le_u16_e64 s[2:3], v7, v6
	s_and_b64 s[2:3], vcc, s[2:3]
	s_or_b64 vcc, s[0:1], s[2:3]
	v_mov_b32_e32 v6, s17
	v_mov_b32_e32 v7, s27
	v_cndmask_b32_e32 v12, v5, v4, vcc
	v_cndmask_b32_e32 v9, v6, v7, vcc
	v_add_u32_e32 v10, 1, v12
	v_add_u32_e32 v9, -1, v9
	v_min_u32_e32 v9, v10, v9
	v_lshlrev_b32_e32 v9, 1, v9
	ds_read_u16 v9, v9
	v_cndmask_b32_e32 v5, v10, v5, vcc
	v_cndmask_b32_e32 v4, v4, v10, vcc
	v_cmp_gt_u32_e64 s[2:3], s27, v4
	v_cmp_le_u32_e64 s[0:1], s17, v5
	s_waitcnt lgkmcnt(0)
	v_cndmask_b32_e32 v13, v9, v3, vcc
	v_cndmask_b32_e32 v9, v2, v9, vcc
	v_and_b32_e32 v10, s19, v13
	v_and_b32_e32 v11, s19, v9
	v_cmp_le_u16_e64 s[4:5], v11, v10
	s_and_b64 s[2:3], s[2:3], s[4:5]
	s_or_b64 s[0:1], s[0:1], s[2:3]
	v_cndmask_b32_e64 v11, v5, v4, s[0:1]
	v_cndmask_b32_e64 v10, v6, v7, s[0:1]
	v_add_u32_e32 v14, 1, v11
	v_add_u32_e32 v10, -1, v10
	v_min_u32_e32 v10, v14, v10
	v_lshlrev_b32_e32 v10, 1, v10
	ds_read_u16 v10, v10
	v_cndmask_b32_e64 v5, v14, v5, s[0:1]
	v_cndmask_b32_e64 v4, v4, v14, s[0:1]
	v_cmp_gt_u32_e64 s[4:5], s27, v4
	v_cmp_le_u32_e64 s[2:3], s17, v5
	s_waitcnt lgkmcnt(0)
	v_cndmask_b32_e64 v15, v10, v13, s[0:1]
	v_cndmask_b32_e64 v16, v9, v10, s[0:1]
	v_and_b32_e32 v10, s19, v15
	v_and_b32_e32 v14, s19, v16
	v_cmp_le_u16_e64 s[6:7], v14, v10
	s_and_b64 s[4:5], s[4:5], s[6:7]
	s_or_b64 s[2:3], s[2:3], s[4:5]
	v_cndmask_b32_e64 v10, v5, v4, s[2:3]
	v_cndmask_b32_e64 v6, v6, v7, s[2:3]
	v_add_u32_e32 v7, 1, v10
	v_add_u32_e32 v6, -1, v6
	v_min_u32_e32 v6, v7, v6
	v_lshlrev_b32_e32 v6, 1, v6
	ds_read_u16 v6, v6
	v_cndmask_b32_e64 v13, v13, v9, s[0:1]
	v_cndmask_b32_e64 v5, v7, v5, s[2:3]
	;; [unrolled: 1-line block ×3, first 2 shown]
	v_cndmask_b32_e32 v2, v3, v2, vcc
	s_waitcnt lgkmcnt(0)
	v_cndmask_b32_e64 v14, v6, v15, s[2:3]
	v_cndmask_b32_e64 v6, v16, v6, s[2:3]
	v_and_b32_e32 v7, s19, v14
	v_and_b32_e32 v9, s19, v6
	v_cndmask_b32_e64 v3, v15, v16, s[2:3]
	v_cmp_gt_u32_e64 s[0:1], s27, v4
	v_cmp_le_u16_e64 s[2:3], v9, v7
	v_cmp_le_u32_e32 vcc, s17, v5
	s_and_b64 s[0:1], s[0:1], s[2:3]
	s_or_b64 vcc, vcc, s[0:1]
	v_cndmask_b32_e32 v9, v5, v4, vcc
	v_cndmask_b32_e32 v4, v14, v6, vcc
	s_mov_b32 s0, 0x5040100
	v_perm_b32 v3, v4, v3, s0
	v_perm_b32 v2, v13, v2, s0
.LBB21_21:
	s_or_b64 exec, exec, s[8:9]
	s_lshl_b64 s[0:1], s[22:23], 3
	s_add_u32 s19, s12, s0
	s_addc_u32 s26, s13, s1
	s_lshl_b64 s[0:1], s[24:25], 3
	s_add_u32 s29, s12, s0
	v_cndmask_b32_e64 v4, 0, 1, s[20:21]
	s_addc_u32 s30, s13, s1
	v_cmp_gt_u32_e64 s[4:5], s27, v0
	v_cmp_ne_u32_e64 s[0:1], 1, v4
	s_andn2_b64 vcc, exec, s[20:21]
	v_cmp_le_u32_e64 s[2:3], s27, v0
	s_barrier
	s_cbranch_vccnz .LBB21_23
; %bb.22:
	v_subrev_u32_e32 v4, s27, v0
	v_mov_b32_e32 v5, 0
	v_lshlrev_b64 v[6:7], 3, v[4:5]
	v_mov_b32_e32 v4, s30
	v_add_co_u32_e32 v6, vcc, s29, v6
	v_addc_co_u32_e32 v4, vcc, v4, v7, vcc
	v_lshlrev_b32_e32 v18, 3, v0
	v_mov_b32_e32 v7, s26
	v_add_co_u32_e32 v19, vcc, s19, v18
	v_addc_co_u32_e32 v20, vcc, 0, v7, vcc
	v_cndmask_b32_e64 v7, v4, v20, s[4:5]
	v_cndmask_b32_e64 v6, v6, v19, s[4:5]
	v_or_b32_e32 v13, 0x100, v0
	s_movk_i32 s4, 0x800
	v_add_co_u32_e32 v16, vcc, s4, v19
	v_subrev_u32_e32 v4, s27, v13
	v_addc_co_u32_e32 v17, vcc, 0, v20, vcc
	v_lshlrev_b64 v[14:15], 3, v[4:5]
	v_mov_b32_e32 v4, s30
	v_add_co_u32_e32 v14, vcc, s29, v14
	v_addc_co_u32_e32 v4, vcc, v4, v15, vcc
	v_cmp_gt_u32_e32 vcc, s27, v13
	v_or_b32_e32 v13, 0x200, v0
	s_movk_i32 s4, 0x1000
	v_cndmask_b32_e32 v15, v4, v17, vcc
	v_cndmask_b32_e32 v14, v14, v16, vcc
	v_add_co_u32_e32 v21, vcc, s4, v19
	v_subrev_u32_e32 v4, s27, v13
	v_addc_co_u32_e32 v22, vcc, 0, v20, vcc
	v_lshlrev_b64 v[16:17], 3, v[4:5]
	v_mov_b32_e32 v4, s30
	v_add_co_u32_e32 v16, vcc, s29, v16
	v_addc_co_u32_e32 v4, vcc, v4, v17, vcc
	v_cmp_gt_u32_e32 vcc, s27, v13
	global_load_dwordx2 v[6:7], v[6:7], off
	v_cndmask_b32_e32 v17, v4, v22, vcc
	global_load_dwordx2 v[14:15], v[14:15], off
	v_cndmask_b32_e32 v16, v16, v21, vcc
	global_load_dwordx2 v[16:17], v[16:17], off
	v_or_b32_e32 v21, 0x300, v0
	s_movk_i32 s4, 0x1800
	v_add_co_u32_e32 v19, vcc, s4, v19
	v_subrev_u32_e32 v4, s27, v21
	v_addc_co_u32_e32 v20, vcc, 0, v20, vcc
	v_lshlrev_b64 v[4:5], 3, v[4:5]
	v_mov_b32_e32 v22, s30
	v_add_co_u32_e32 v4, vcc, s29, v4
	v_addc_co_u32_e32 v5, vcc, v22, v5, vcc
	v_cmp_gt_u32_e32 vcc, s27, v21
	v_or_b32_e32 v13, 0x1800, v18
	v_cndmask_b32_e32 v5, v5, v20, vcc
	v_cndmask_b32_e32 v4, v4, v19, vcc
	s_mov_b64 s[4:5], -1
	s_waitcnt vmcnt(1)
	ds_write2st64_b64 v18, v[6:7], v[14:15] offset1:4
	s_waitcnt vmcnt(0)
	ds_write_b64 v18, v[16:17] offset:4096
	s_cbranch_execz .LBB21_24
	s_branch .LBB21_43
.LBB21_23:
	s_mov_b64 s[4:5], 0
                                        ; implicit-def: $vgpr13
                                        ; implicit-def: $vgpr4_vgpr5
.LBB21_24:
	s_mov_b64 s[6:7], 0
                                        ; implicit-def: $vgpr4_vgpr5
	s_and_saveexec_b64 s[8:9], s[2:3]
	s_xor_b64 s[2:3], exec, s[8:9]
	s_cbranch_execnz .LBB21_72
; %bb.25:
	s_andn2_saveexec_b64 s[2:3], s[2:3]
	s_cbranch_execnz .LBB21_75
.LBB21_26:
	s_or_b64 exec, exec, s[2:3]
	v_mad_u32_u24 v13, v0, 6, v1
	s_and_saveexec_b64 s[2:3], s[6:7]
	s_cbranch_execz .LBB21_28
.LBB21_27:
	global_load_dwordx2 v[4:5], v[4:5], off
	s_waitcnt vmcnt(0)
	ds_write_b64 v13, v[4:5]
.LBB21_28:
	s_or_b64 exec, exec, s[2:3]
	v_or_b32_e32 v4, 0x100, v0
	v_cmp_le_u32_e32 vcc, s27, v4
	s_mov_b64 s[6:7], -1
	v_pk_mov_b32 v[6:7], s[22:23], s[22:23] op_sel:[0,1]
	s_and_saveexec_b64 s[2:3], vcc
; %bb.29:
	v_subrev_u32_e32 v4, s27, v4
	v_cmp_gt_u32_e32 vcc, s28, v4
	v_pk_mov_b32 v[6:7], s[24:25], s[24:25] op_sel:[0,1]
	s_orn2_b64 s[6:7], vcc, exec
; %bb.30:
	s_or_b64 exec, exec, s[2:3]
	s_and_saveexec_b64 s[2:3], s[6:7]
	s_cbranch_execz .LBB21_32
; %bb.31:
	v_lshlrev_b64 v[6:7], 3, v[6:7]
	v_mov_b32_e32 v5, s13
	v_add_co_u32_e32 v6, vcc, s12, v6
	v_addc_co_u32_e32 v7, vcc, v5, v7, vcc
	v_mov_b32_e32 v5, 0
	v_lshlrev_b64 v[4:5], 3, v[4:5]
	v_add_co_u32_e32 v4, vcc, v6, v4
	v_addc_co_u32_e32 v5, vcc, v7, v5, vcc
	global_load_dwordx2 v[4:5], v[4:5], off
	s_waitcnt vmcnt(0)
	ds_write_b64 v13, v[4:5] offset:2048
.LBB21_32:
	s_or_b64 exec, exec, s[2:3]
	v_or_b32_e32 v4, 0x200, v0
	v_cmp_le_u32_e32 vcc, s27, v4
	s_mov_b64 s[6:7], -1
	v_pk_mov_b32 v[6:7], s[22:23], s[22:23] op_sel:[0,1]
	s_and_saveexec_b64 s[2:3], vcc
; %bb.33:
	v_subrev_u32_e32 v4, s27, v4
	v_cmp_gt_u32_e32 vcc, s28, v4
	v_pk_mov_b32 v[6:7], s[24:25], s[24:25] op_sel:[0,1]
	s_orn2_b64 s[6:7], vcc, exec
; %bb.34:
	s_or_b64 exec, exec, s[2:3]
	s_and_saveexec_b64 s[2:3], s[6:7]
	s_cbranch_execz .LBB21_36
; %bb.35:
	v_lshlrev_b64 v[6:7], 3, v[6:7]
	v_mov_b32_e32 v5, s13
	v_add_co_u32_e32 v6, vcc, s12, v6
	v_addc_co_u32_e32 v7, vcc, v5, v7, vcc
	v_mov_b32_e32 v5, 0
	v_lshlrev_b64 v[4:5], 3, v[4:5]
	v_add_co_u32_e32 v4, vcc, v6, v4
	v_addc_co_u32_e32 v5, vcc, v7, v5, vcc
	global_load_dwordx2 v[4:5], v[4:5], off
	s_waitcnt vmcnt(0)
	ds_write_b64 v13, v[4:5] offset:4096
.LBB21_36:
	s_or_b64 exec, exec, s[2:3]
	v_or_b32_e32 v6, 0x300, v0
	v_cmp_le_u32_e32 vcc, s27, v6
                                        ; implicit-def: $vgpr13
                                        ; implicit-def: $vgpr4_vgpr5
	s_and_saveexec_b64 s[2:3], vcc
	s_xor_b64 s[2:3], exec, s[2:3]
	s_cbranch_execz .LBB21_40
; %bb.37:
	v_subrev_u32_e32 v6, s27, v6
	v_cmp_gt_u32_e32 vcc, s28, v6
	s_mov_b64 s[8:9], s[4:5]
                                        ; implicit-def: $vgpr13
                                        ; implicit-def: $vgpr4_vgpr5
	s_and_saveexec_b64 s[6:7], vcc
; %bb.38:
	v_mul_u32_u24_e32 v4, 6, v0
	s_movk_i32 s8, 0x1800
	v_mov_b32_e32 v7, 0
	v_add3_u32 v13, v1, v4, s8
	v_lshlrev_b64 v[4:5], 3, v[6:7]
	v_mov_b32_e32 v6, s30
	v_add_co_u32_e32 v4, vcc, s29, v4
	v_addc_co_u32_e32 v5, vcc, v6, v5, vcc
	s_or_b64 s[8:9], s[4:5], exec
; %bb.39:
	s_or_b64 exec, exec, s[6:7]
	s_andn2_b64 s[4:5], s[4:5], exec
	s_and_b64 s[6:7], s[8:9], exec
	s_or_b64 s[4:5], s[4:5], s[6:7]
                                        ; implicit-def: $vgpr6
.LBB21_40:
	s_andn2_saveexec_b64 s[2:3], s[2:3]
; %bb.41:
	v_lshlrev_b32_e32 v4, 3, v6
	v_mov_b32_e32 v5, s26
	v_add_co_u32_e32 v4, vcc, s19, v4
	v_mul_u32_u24_e32 v6, 6, v0
	s_movk_i32 s6, 0x1800
	v_addc_co_u32_e32 v5, vcc, 0, v5, vcc
	v_add3_u32 v13, v1, v6, s6
	s_or_b64 s[4:5], s[4:5], exec
; %bb.42:
	s_or_b64 exec, exec, s[2:3]
.LBB21_43:
	s_and_saveexec_b64 s[2:3], s[4:5]
	s_cbranch_execz .LBB21_45
; %bb.44:
	global_load_dwordx2 v[4:5], v[4:5], off
	s_waitcnt vmcnt(0)
	ds_write_b64 v13, v[4:5]
.LBB21_45:
	s_or_b64 exec, exec, s[2:3]
	s_and_b64 vcc, exec, s[0:1]
	v_add_u32_e32 v4, s18, v8
	s_waitcnt lgkmcnt(0)
	s_barrier
	s_cbranch_vccnz .LBB21_47
; %bb.46:
	v_lshlrev_b32_e32 v13, 3, v12
	v_lshlrev_b32_e32 v16, 3, v11
	;; [unrolled: 1-line block ×3, first 2 shown]
	ds_read_b64 v[14:15], v13
	ds_read_b64 v[16:17], v16
	;; [unrolled: 1-line block ×3, first 2 shown]
	v_mov_b32_e32 v5, 0
	v_lshlrev_b64 v[6:7], 3, v[4:5]
	v_mov_b32_e32 v20, s15
	v_add_co_u32_e32 v6, vcc, s14, v6
	v_addc_co_u32_e32 v7, vcc, v20, v7, vcc
	s_mov_b64 s[0:1], -1
	s_waitcnt lgkmcnt(1)
	global_store_dwordx4 v[6:7], v[14:17], off
	s_waitcnt lgkmcnt(0)
	global_store_dwordx2 v[6:7], v[18:19], off offset:16
	s_cbranch_execz .LBB21_48
	s_branch .LBB21_57
.LBB21_47:
	s_mov_b64 s[0:1], 0
.LBB21_48:
	v_cmp_gt_u32_e32 vcc, s17, v8
	s_and_saveexec_b64 s[2:3], vcc
	s_cbranch_execz .LBB21_50
; %bb.49:
	v_lshlrev_b32_e32 v12, 3, v12
	ds_read_b64 v[12:13], v12
	v_mov_b32_e32 v5, 0
	v_lshlrev_b64 v[6:7], 3, v[4:5]
	v_mov_b32_e32 v5, s15
	v_add_co_u32_e32 v6, vcc, s14, v6
	v_addc_co_u32_e32 v7, vcc, v5, v7, vcc
	s_waitcnt lgkmcnt(0)
	global_store_dwordx2 v[6:7], v[12:13], off
.LBB21_50:
	s_or_b64 exec, exec, s[2:3]
	v_or_b32_e32 v5, 1, v8
	v_cmp_gt_u32_e32 vcc, s17, v5
	s_and_saveexec_b64 s[2:3], vcc
	s_cbranch_execz .LBB21_52
; %bb.51:
	v_lshlrev_b32_e32 v11, 3, v11
	ds_read_b64 v[12:13], v11
	v_mov_b32_e32 v5, 0
	v_lshlrev_b64 v[6:7], 3, v[4:5]
	v_mov_b32_e32 v5, s15
	v_add_co_u32_e32 v6, vcc, s14, v6
	v_addc_co_u32_e32 v7, vcc, v5, v7, vcc
	s_waitcnt lgkmcnt(0)
	global_store_dwordx2 v[6:7], v[12:13], off offset:8
.LBB21_52:
	s_or_b64 exec, exec, s[2:3]
	v_or_b32_e32 v5, 2, v8
	v_cmp_gt_u32_e32 vcc, s17, v5
	s_and_saveexec_b64 s[2:3], vcc
	s_cbranch_execz .LBB21_54
; %bb.53:
	v_lshlrev_b32_e32 v10, 3, v10
	ds_read_b64 v[10:11], v10
	v_mov_b32_e32 v5, 0
	v_lshlrev_b64 v[6:7], 3, v[4:5]
	v_mov_b32_e32 v5, s15
	v_add_co_u32_e32 v6, vcc, s14, v6
	v_addc_co_u32_e32 v7, vcc, v5, v7, vcc
	s_waitcnt lgkmcnt(0)
	global_store_dwordx2 v[6:7], v[10:11], off offset:16
.LBB21_54:
	s_or_b64 exec, exec, s[2:3]
	v_or_b32_e32 v5, 3, v8
	v_cmp_gt_u32_e32 vcc, s17, v5
	s_and_saveexec_b64 s[2:3], vcc
; %bb.55:
	v_mov_b32_e32 v5, 0
	s_or_b64 s[0:1], s[0:1], exec
; %bb.56:
	s_or_b64 exec, exec, s[2:3]
.LBB21_57:
	s_and_saveexec_b64 s[2:3], s[0:1]
	s_cbranch_execz .LBB21_59
; %bb.58:
	v_lshlrev_b32_e32 v6, 3, v9
	ds_read_b64 v[6:7], v6
	v_lshlrev_b64 v[4:5], 3, v[4:5]
	v_mov_b32_e32 v10, s15
	v_add_co_u32_e32 v4, vcc, s14, v4
	v_addc_co_u32_e32 v5, vcc, v10, v5, vcc
	s_waitcnt lgkmcnt(0)
	global_store_dwordx2 v[4:5], v[6:7], off offset:24
.LBB21_59:
	s_or_b64 exec, exec, s[2:3]
	v_lshrrev_b32_e32 v4, 2, v0
	v_and_b32_e32 v4, 60, v4
	v_lshl_add_u32 v4, v8, 1, v4
	s_barrier
	s_barrier
	ds_write2_b32 v4, v2, v3 offset1:1
	v_lshrrev_b32_e32 v2, 4, v0
	v_and_b32_e32 v2, 12, v2
	v_or_b32_e32 v6, 0x100, v0
	v_add_u32_e32 v7, v1, v2
	v_lshrrev_b32_e32 v2, 4, v6
	v_and_b32_e32 v2, 28, v2
	v_or_b32_e32 v5, 0x200, v0
	s_mov_b32 s19, 0
	v_add_u32_e32 v8, v1, v2
	v_lshrrev_b32_e32 v2, 4, v5
	s_lshl_b64 s[0:1], s[18:19], 1
	v_and_b32_e32 v2, 44, v2
	v_or_b32_e32 v4, 0x300, v0
	s_add_u32 s0, s10, s0
	v_add_u32_e32 v9, v1, v2
	v_lshrrev_b32_e32 v2, 4, v4
	s_addc_u32 s1, s11, s1
	v_and_b32_e32 v2, 60, v2
	v_add_u32_e32 v10, v1, v2
	v_mov_b32_e32 v3, s1
	v_add_co_u32_e32 v2, vcc, s0, v1
	v_addc_co_u32_e32 v3, vcc, 0, v3, vcc
	s_and_b64 vcc, exec, s[20:21]
	s_waitcnt lgkmcnt(0)
	s_cbranch_vccz .LBB21_61
; %bb.60:
	s_barrier
	ds_read_u16 v11, v7
	ds_read_u16 v12, v8 offset:512
	ds_read_u16 v13, v9 offset:1024
	;; [unrolled: 1-line block ×3, first 2 shown]
	s_waitcnt lgkmcnt(3)
	global_store_short v[2:3], v11, off
	s_waitcnt lgkmcnt(2)
	global_store_short v[2:3], v12, off offset:512
	s_waitcnt lgkmcnt(1)
	global_store_short v[2:3], v13, off offset:1024
	s_mov_b64 s[0:1], -1
	s_cbranch_execz .LBB21_62
	s_branch .LBB21_67
.LBB21_61:
	s_mov_b64 s[0:1], 0
                                        ; implicit-def: $vgpr1
.LBB21_62:
	s_barrier
	s_waitcnt lgkmcnt(0)
	ds_read_u16 v11, v8 offset:512
	ds_read_u16 v8, v9 offset:1024
	;; [unrolled: 1-line block ×3, first 2 shown]
	s_sub_i32 s2, s16, s18
	v_cmp_gt_u32_e32 vcc, s2, v0
	s_and_saveexec_b64 s[0:1], vcc
	s_cbranch_execnz .LBB21_76
; %bb.63:
	s_or_b64 exec, exec, s[0:1]
	v_cmp_gt_u32_e32 vcc, s2, v6
	s_and_saveexec_b64 s[0:1], vcc
	s_cbranch_execnz .LBB21_77
.LBB21_64:
	s_or_b64 exec, exec, s[0:1]
	v_cmp_gt_u32_e32 vcc, s2, v5
	s_and_saveexec_b64 s[0:1], vcc
	s_cbranch_execz .LBB21_66
.LBB21_65:
	s_waitcnt lgkmcnt(1)
	global_store_short v[2:3], v8, off offset:1024
.LBB21_66:
	s_or_b64 exec, exec, s[0:1]
	v_cmp_gt_u32_e64 s[0:1], s2, v4
.LBB21_67:
	s_and_saveexec_b64 s[2:3], s[0:1]
	s_cbranch_execz .LBB21_69
; %bb.68:
	s_waitcnt lgkmcnt(0)
	global_store_short v[2:3], v1, off offset:1536
.LBB21_69:
	s_endpgm
.LBB21_70:
	v_mov_b32_e32 v2, s29
	v_add_co_u32_e32 v5, vcc, s7, v1
	v_mov_b32_e32 v3, 0
	v_addc_co_u32_e32 v7, vcc, 0, v2, vcc
	v_subrev_u32_e32 v2, s27, v0
	v_lshlrev_b64 v[2:3], 1, v[2:3]
	v_mov_b32_e32 v9, s5
	v_add_co_u32_e32 v2, vcc, s4, v2
	v_addc_co_u32_e32 v3, vcc, v9, v3, vcc
	v_cmp_gt_u32_e32 vcc, s27, v0
	v_cndmask_b32_e32 v3, v3, v7, vcc
	v_cndmask_b32_e32 v2, v2, v5, vcc
	global_load_ushort v2, v[2:3], off
	s_or_b64 exec, exec, s[0:1]
	v_cmp_gt_u32_e32 vcc, s17, v6
	s_and_saveexec_b64 s[2:3], vcc
	s_cbranch_execz .LBB21_6
.LBB21_71:
	v_mov_b32_e32 v7, 0
	v_lshlrev_b64 v[10:11], 1, v[6:7]
	v_mov_b32_e32 v5, s29
	v_add_co_u32_e32 v9, vcc, s7, v10
	v_addc_co_u32_e32 v5, vcc, v5, v11, vcc
	v_cmp_gt_u32_e32 vcc, s27, v6
	v_subrev_u32_e32 v6, s27, v6
	v_lshlrev_b64 v[6:7], 1, v[6:7]
	v_mov_b32_e32 v10, s5
	v_add_co_u32_e64 v6, s[0:1], s4, v6
	v_addc_co_u32_e64 v7, s[0:1], v10, v7, s[0:1]
	v_cndmask_b32_e32 v7, v7, v5, vcc
	v_cndmask_b32_e32 v6, v6, v9, vcc
	global_load_ushort v5, v[6:7], off
	s_mov_b32 s0, 0x5040100
	s_waitcnt vmcnt(0)
	v_perm_b32 v2, v5, v2, s0
	s_or_b64 exec, exec, s[2:3]
	v_cmp_gt_u32_e32 vcc, s17, v4
	s_and_saveexec_b64 s[0:1], vcc
	s_cbranch_execnz .LBB21_7
	s_branch .LBB21_8
.LBB21_72:
	v_subrev_u32_e32 v6, s27, v0
	v_cmp_gt_u32_e32 vcc, s28, v6
                                        ; implicit-def: $vgpr4_vgpr5
	s_and_saveexec_b64 s[8:9], vcc
	s_xor_b64 s[8:9], exec, s[8:9]
; %bb.73:
	v_mov_b32_e32 v7, 0
	v_lshlrev_b64 v[4:5], 3, v[6:7]
	v_mov_b32_e32 v6, s30
	v_add_co_u32_e32 v4, vcc, s29, v4
	s_mov_b64 s[6:7], exec
	v_addc_co_u32_e32 v5, vcc, v6, v5, vcc
; %bb.74:
	s_or_b64 exec, exec, s[8:9]
	s_and_b64 s[6:7], s[6:7], exec
	s_andn2_saveexec_b64 s[2:3], s[2:3]
	s_cbranch_execz .LBB21_26
.LBB21_75:
	v_lshlrev_b32_e32 v4, 3, v0
	v_mov_b32_e32 v5, s26
	v_add_co_u32_e32 v4, vcc, s19, v4
	v_addc_co_u32_e32 v5, vcc, 0, v5, vcc
	s_or_b64 s[6:7], s[6:7], exec
	s_or_b64 exec, exec, s[2:3]
	v_mad_u32_u24 v13, v0, 6, v1
	s_and_saveexec_b64 s[2:3], s[6:7]
	s_cbranch_execnz .LBB21_27
	s_branch .LBB21_28
.LBB21_76:
	ds_read_u16 v0, v7
	s_waitcnt lgkmcnt(0)
	global_store_short v[2:3], v0, off
	s_or_b64 exec, exec, s[0:1]
	v_cmp_gt_u32_e32 vcc, s2, v6
	s_and_saveexec_b64 s[0:1], vcc
	s_cbranch_execz .LBB21_64
.LBB21_77:
	s_waitcnt lgkmcnt(2)
	global_store_short v[2:3], v11, off offset:512
	s_or_b64 exec, exec, s[0:1]
	v_cmp_gt_u32_e32 vcc, s2, v5
	s_and_saveexec_b64 s[0:1], vcc
	s_cbranch_execnz .LBB21_65
	s_branch .LBB21_66
	.section	.rodata,"a",@progbits
	.p2align	6, 0x0
	.amdhsa_kernel _ZN7rocprim17ROCPRIM_304000_NS6detail35device_block_merge_mergepath_kernelINS1_37wrapped_merge_sort_block_merge_configINS0_14default_configEtN2at4cuda3cub6detail10OpaqueTypeILi8EEEEEPtSC_PSA_SD_jNS1_19radix_merge_compareILb0ELb1EtNS0_19identity_decomposerEEEEEvT0_T1_T2_T3_T4_SL_jT5_PKSL_NS1_7vsmem_tE
		.amdhsa_group_segment_fixed_size 8208
		.amdhsa_private_segment_fixed_size 0
		.amdhsa_kernarg_size 320
		.amdhsa_user_sgpr_count 6
		.amdhsa_user_sgpr_private_segment_buffer 1
		.amdhsa_user_sgpr_dispatch_ptr 0
		.amdhsa_user_sgpr_queue_ptr 0
		.amdhsa_user_sgpr_kernarg_segment_ptr 1
		.amdhsa_user_sgpr_dispatch_id 0
		.amdhsa_user_sgpr_flat_scratch_init 0
		.amdhsa_user_sgpr_kernarg_preload_length 0
		.amdhsa_user_sgpr_kernarg_preload_offset 0
		.amdhsa_user_sgpr_private_segment_size 0
		.amdhsa_uses_dynamic_stack 0
		.amdhsa_system_sgpr_private_segment_wavefront_offset 0
		.amdhsa_system_sgpr_workgroup_id_x 1
		.amdhsa_system_sgpr_workgroup_id_y 1
		.amdhsa_system_sgpr_workgroup_id_z 1
		.amdhsa_system_sgpr_workgroup_info 0
		.amdhsa_system_vgpr_workitem_id 0
		.amdhsa_next_free_vgpr 23
		.amdhsa_next_free_sgpr 31
		.amdhsa_accum_offset 24
		.amdhsa_reserve_vcc 1
		.amdhsa_reserve_flat_scratch 0
		.amdhsa_float_round_mode_32 0
		.amdhsa_float_round_mode_16_64 0
		.amdhsa_float_denorm_mode_32 3
		.amdhsa_float_denorm_mode_16_64 3
		.amdhsa_dx10_clamp 1
		.amdhsa_ieee_mode 1
		.amdhsa_fp16_overflow 0
		.amdhsa_tg_split 0
		.amdhsa_exception_fp_ieee_invalid_op 0
		.amdhsa_exception_fp_denorm_src 0
		.amdhsa_exception_fp_ieee_div_zero 0
		.amdhsa_exception_fp_ieee_overflow 0
		.amdhsa_exception_fp_ieee_underflow 0
		.amdhsa_exception_fp_ieee_inexact 0
		.amdhsa_exception_int_div_zero 0
	.end_amdhsa_kernel
	.section	.text._ZN7rocprim17ROCPRIM_304000_NS6detail35device_block_merge_mergepath_kernelINS1_37wrapped_merge_sort_block_merge_configINS0_14default_configEtN2at4cuda3cub6detail10OpaqueTypeILi8EEEEEPtSC_PSA_SD_jNS1_19radix_merge_compareILb0ELb1EtNS0_19identity_decomposerEEEEEvT0_T1_T2_T3_T4_SL_jT5_PKSL_NS1_7vsmem_tE,"axG",@progbits,_ZN7rocprim17ROCPRIM_304000_NS6detail35device_block_merge_mergepath_kernelINS1_37wrapped_merge_sort_block_merge_configINS0_14default_configEtN2at4cuda3cub6detail10OpaqueTypeILi8EEEEEPtSC_PSA_SD_jNS1_19radix_merge_compareILb0ELb1EtNS0_19identity_decomposerEEEEEvT0_T1_T2_T3_T4_SL_jT5_PKSL_NS1_7vsmem_tE,comdat
.Lfunc_end21:
	.size	_ZN7rocprim17ROCPRIM_304000_NS6detail35device_block_merge_mergepath_kernelINS1_37wrapped_merge_sort_block_merge_configINS0_14default_configEtN2at4cuda3cub6detail10OpaqueTypeILi8EEEEEPtSC_PSA_SD_jNS1_19radix_merge_compareILb0ELb1EtNS0_19identity_decomposerEEEEEvT0_T1_T2_T3_T4_SL_jT5_PKSL_NS1_7vsmem_tE, .Lfunc_end21-_ZN7rocprim17ROCPRIM_304000_NS6detail35device_block_merge_mergepath_kernelINS1_37wrapped_merge_sort_block_merge_configINS0_14default_configEtN2at4cuda3cub6detail10OpaqueTypeILi8EEEEEPtSC_PSA_SD_jNS1_19radix_merge_compareILb0ELb1EtNS0_19identity_decomposerEEEEEvT0_T1_T2_T3_T4_SL_jT5_PKSL_NS1_7vsmem_tE
                                        ; -- End function
	.section	.AMDGPU.csdata,"",@progbits
; Kernel info:
; codeLenInByte = 3608
; NumSgprs: 35
; NumVgprs: 23
; NumAgprs: 0
; TotalNumVgprs: 23
; ScratchSize: 0
; MemoryBound: 1
; FloatMode: 240
; IeeeMode: 1
; LDSByteSize: 8208 bytes/workgroup (compile time only)
; SGPRBlocks: 4
; VGPRBlocks: 2
; NumSGPRsForWavesPerEU: 35
; NumVGPRsForWavesPerEU: 23
; AccumOffset: 24
; Occupancy: 7
; WaveLimiterHint : 1
; COMPUTE_PGM_RSRC2:SCRATCH_EN: 0
; COMPUTE_PGM_RSRC2:USER_SGPR: 6
; COMPUTE_PGM_RSRC2:TRAP_HANDLER: 0
; COMPUTE_PGM_RSRC2:TGID_X_EN: 1
; COMPUTE_PGM_RSRC2:TGID_Y_EN: 1
; COMPUTE_PGM_RSRC2:TGID_Z_EN: 1
; COMPUTE_PGM_RSRC2:TIDIG_COMP_CNT: 0
; COMPUTE_PGM_RSRC3_GFX90A:ACCUM_OFFSET: 5
; COMPUTE_PGM_RSRC3_GFX90A:TG_SPLIT: 0
	.section	.text._ZN7rocprim17ROCPRIM_304000_NS6detail33device_block_merge_oddeven_kernelINS1_37wrapped_merge_sort_block_merge_configINS0_14default_configEtN2at4cuda3cub6detail10OpaqueTypeILi8EEEEEPtSC_PSA_SD_jNS1_19radix_merge_compareILb0ELb1EtNS0_19identity_decomposerEEEEEvT0_T1_T2_T3_T4_SL_T5_,"axG",@progbits,_ZN7rocprim17ROCPRIM_304000_NS6detail33device_block_merge_oddeven_kernelINS1_37wrapped_merge_sort_block_merge_configINS0_14default_configEtN2at4cuda3cub6detail10OpaqueTypeILi8EEEEEPtSC_PSA_SD_jNS1_19radix_merge_compareILb0ELb1EtNS0_19identity_decomposerEEEEEvT0_T1_T2_T3_T4_SL_T5_,comdat
	.protected	_ZN7rocprim17ROCPRIM_304000_NS6detail33device_block_merge_oddeven_kernelINS1_37wrapped_merge_sort_block_merge_configINS0_14default_configEtN2at4cuda3cub6detail10OpaqueTypeILi8EEEEEPtSC_PSA_SD_jNS1_19radix_merge_compareILb0ELb1EtNS0_19identity_decomposerEEEEEvT0_T1_T2_T3_T4_SL_T5_ ; -- Begin function _ZN7rocprim17ROCPRIM_304000_NS6detail33device_block_merge_oddeven_kernelINS1_37wrapped_merge_sort_block_merge_configINS0_14default_configEtN2at4cuda3cub6detail10OpaqueTypeILi8EEEEEPtSC_PSA_SD_jNS1_19radix_merge_compareILb0ELb1EtNS0_19identity_decomposerEEEEEvT0_T1_T2_T3_T4_SL_T5_
	.globl	_ZN7rocprim17ROCPRIM_304000_NS6detail33device_block_merge_oddeven_kernelINS1_37wrapped_merge_sort_block_merge_configINS0_14default_configEtN2at4cuda3cub6detail10OpaqueTypeILi8EEEEEPtSC_PSA_SD_jNS1_19radix_merge_compareILb0ELb1EtNS0_19identity_decomposerEEEEEvT0_T1_T2_T3_T4_SL_T5_
	.p2align	8
	.type	_ZN7rocprim17ROCPRIM_304000_NS6detail33device_block_merge_oddeven_kernelINS1_37wrapped_merge_sort_block_merge_configINS0_14default_configEtN2at4cuda3cub6detail10OpaqueTypeILi8EEEEEPtSC_PSA_SD_jNS1_19radix_merge_compareILb0ELb1EtNS0_19identity_decomposerEEEEEvT0_T1_T2_T3_T4_SL_T5_,@function
_ZN7rocprim17ROCPRIM_304000_NS6detail33device_block_merge_oddeven_kernelINS1_37wrapped_merge_sort_block_merge_configINS0_14default_configEtN2at4cuda3cub6detail10OpaqueTypeILi8EEEEEPtSC_PSA_SD_jNS1_19radix_merge_compareILb0ELb1EtNS0_19identity_decomposerEEEEEvT0_T1_T2_T3_T4_SL_T5_: ; @_ZN7rocprim17ROCPRIM_304000_NS6detail33device_block_merge_oddeven_kernelINS1_37wrapped_merge_sort_block_merge_configINS0_14default_configEtN2at4cuda3cub6detail10OpaqueTypeILi8EEEEEPtSC_PSA_SD_jNS1_19radix_merge_compareILb0ELb1EtNS0_19identity_decomposerEEEEEvT0_T1_T2_T3_T4_SL_T5_
; %bb.0:
	s_load_dwordx4 s[16:19], s[4:5], 0x20
	s_waitcnt lgkmcnt(0)
	s_lshr_b32 s2, s16, 8
	s_cmp_lg_u32 s6, s2
	s_cselect_b64 s[0:1], -1, 0
	s_cmp_eq_u32 s6, s2
	s_cselect_b64 s[20:21], -1, 0
	s_lshl_b32 s22, s6, 8
	s_sub_i32 s2, s16, s22
	v_cmp_gt_u32_e64 s[2:3], s2, v0
	s_or_b64 s[0:1], s[0:1], s[2:3]
	s_and_saveexec_b64 s[8:9], s[0:1]
	s_cbranch_execz .LBB22_26
; %bb.1:
	s_load_dwordx8 s[8:15], s[4:5], 0x0
	s_mov_b32 s23, 0
	s_lshl_b64 s[0:1], s[22:23], 1
	v_lshlrev_b32_e32 v4, 3, v0
	v_lshlrev_b32_e32 v1, 1, v0
	s_waitcnt lgkmcnt(0)
	s_add_u32 s0, s8, s0
	s_addc_u32 s1, s9, s1
	s_lshl_b64 s[4:5], s[22:23], 3
	s_add_u32 s4, s12, s4
	s_addc_u32 s5, s13, s5
	global_load_dwordx2 v[2:3], v4, s[4:5]
	global_load_ushort v6, v1, s[0:1]
	s_lshr_b32 s0, s17, 8
	s_sub_i32 s1, 0, s0
	s_and_b32 s1, s6, s1
	s_and_b32 s0, s1, s0
	s_lshl_b32 s23, s1, 8
	s_sub_i32 s6, 0, s17
	s_cmp_eq_u32 s0, 0
	s_cselect_b64 s[0:1], -1, 0
	s_and_b64 s[4:5], s[0:1], exec
	s_cselect_b32 s19, s17, s6
	s_add_i32 s19, s19, s23
	s_cmp_lt_u32 s19, s16
	v_add_u32_e32 v4, s22, v0
	s_cbranch_scc1 .LBB22_6
; %bb.2:
	s_and_b64 vcc, exec, s[20:21]
	s_cbranch_vccz .LBB22_7
; %bb.3:
	v_cmp_gt_u32_e32 vcc, s16, v4
	s_mov_b64 s[6:7], 0
	s_mov_b64 s[4:5], 0
                                        ; implicit-def: $vgpr0_vgpr1
	s_and_saveexec_b64 s[12:13], vcc
	s_cbranch_execz .LBB22_5
; %bb.4:
	v_mov_b32_e32 v5, 0
	v_lshlrev_b64 v[0:1], 3, v[4:5]
	v_mov_b32_e32 v7, s15
	v_add_co_u32_e32 v0, vcc, s14, v0
	v_addc_co_u32_e32 v1, vcc, v7, v1, vcc
	v_lshlrev_b64 v[8:9], 1, v[4:5]
	v_mov_b32_e32 v5, s11
	v_add_co_u32_e32 v8, vcc, s10, v8
	s_mov_b64 s[4:5], exec
	v_addc_co_u32_e32 v9, vcc, v5, v9, vcc
	s_waitcnt vmcnt(0)
	global_store_short v[8:9], v6, off
.LBB22_5:
	s_or_b64 exec, exec, s[12:13]
	s_and_b64 vcc, exec, s[6:7]
	s_cbranch_vccnz .LBB22_8
	s_branch .LBB22_9
.LBB22_6:
	s_mov_b64 s[4:5], 0
                                        ; implicit-def: $vgpr0_vgpr1
	s_cbranch_execnz .LBB22_10
	s_branch .LBB22_24
.LBB22_7:
	s_mov_b64 s[4:5], 0
                                        ; implicit-def: $vgpr0_vgpr1
	s_cbranch_execz .LBB22_9
.LBB22_8:
	v_mov_b32_e32 v5, 0
	v_lshlrev_b64 v[0:1], 1, v[4:5]
	v_mov_b32_e32 v7, s11
	v_add_co_u32_e32 v0, vcc, s10, v0
	v_addc_co_u32_e32 v1, vcc, v7, v1, vcc
	s_waitcnt vmcnt(0)
	global_store_short v[0:1], v6, off
	v_lshlrev_b64 v[0:1], 3, v[4:5]
	v_mov_b32_e32 v5, s15
	v_add_co_u32_e32 v0, vcc, s14, v0
	v_addc_co_u32_e32 v1, vcc, v5, v1, vcc
	s_or_b64 s[4:5], s[4:5], exec
.LBB22_9:
	s_branch .LBB22_24
.LBB22_10:
	s_min_u32 s12, s19, s16
	s_add_i32 s6, s12, s17
	s_min_u32 s13, s6, s16
	s_min_u32 s6, s23, s12
	s_add_i32 s23, s23, s12
	v_subrev_u32_e32 v0, s23, v4
	v_add_u32_e32 v4, s6, v0
	s_and_b64 vcc, exec, s[20:21]
	s_cbranch_vccz .LBB22_18
; %bb.11:
                                        ; implicit-def: $vgpr0_vgpr1
	s_and_saveexec_b64 s[6:7], s[2:3]
	s_cbranch_execz .LBB22_17
; %bb.12:
	s_cmp_ge_u32 s19, s13
	v_mov_b32_e32 v0, s12
	s_cbranch_scc1 .LBB22_16
; %bb.13:
	s_waitcnt vmcnt(0)
	v_and_b32_e32 v1, s18, v6
	s_mov_b64 s[2:3], 0
	v_mov_b32_e32 v5, s13
	v_mov_b32_e32 v0, s12
.LBB22_14:                              ; =>This Inner Loop Header: Depth=1
	v_add_u32_e32 v7, v0, v5
	v_and_b32_e32 v8, -2, v7
	global_load_ushort v8, v8, s[8:9]
	v_lshrrev_b32_e32 v7, 1, v7
	v_add_u32_e32 v9, 1, v7
	s_waitcnt vmcnt(0)
	v_and_b32_e32 v8, s18, v8
	v_cmp_gt_u16_e32 vcc, v1, v8
	v_cndmask_b32_e64 v10, 0, 1, vcc
	v_cmp_le_u16_e32 vcc, v8, v1
	v_cndmask_b32_e64 v8, 0, 1, vcc
	v_cndmask_b32_e64 v8, v8, v10, s[0:1]
	v_and_b32_e32 v8, 1, v8
	v_cmp_eq_u32_e32 vcc, 1, v8
	v_cndmask_b32_e32 v5, v7, v5, vcc
	v_cndmask_b32_e32 v0, v0, v9, vcc
	v_cmp_ge_u32_e32 vcc, v0, v5
	s_or_b64 s[2:3], vcc, s[2:3]
	s_andn2_b64 exec, exec, s[2:3]
	s_cbranch_execnz .LBB22_14
; %bb.15:
	s_or_b64 exec, exec, s[2:3]
.LBB22_16:
	v_add_u32_e32 v0, v0, v4
	v_mov_b32_e32 v1, 0
	v_lshlrev_b64 v[8:9], 1, v[0:1]
	v_mov_b32_e32 v5, s11
	v_add_co_u32_e32 v8, vcc, s10, v8
	v_addc_co_u32_e32 v9, vcc, v5, v9, vcc
	v_lshlrev_b64 v[0:1], 3, v[0:1]
	v_mov_b32_e32 v5, s15
	v_add_co_u32_e32 v0, vcc, s14, v0
	s_waitcnt vmcnt(0)
	global_store_short v[8:9], v6, off
	v_addc_co_u32_e32 v1, vcc, v5, v1, vcc
	s_or_b64 s[4:5], s[4:5], exec
.LBB22_17:
	s_or_b64 exec, exec, s[6:7]
	s_branch .LBB22_24
.LBB22_18:
                                        ; implicit-def: $vgpr0_vgpr1
	s_cbranch_execz .LBB22_24
; %bb.19:
	s_cmp_ge_u32 s19, s13
	v_mov_b32_e32 v0, s12
	s_cbranch_scc1 .LBB22_23
; %bb.20:
	s_waitcnt vmcnt(0)
	v_and_b32_e32 v1, s18, v6
	s_mov_b64 s[2:3], 0
	v_mov_b32_e32 v5, s13
	v_mov_b32_e32 v0, s12
.LBB22_21:                              ; =>This Inner Loop Header: Depth=1
	v_add_u32_e32 v7, v0, v5
	v_and_b32_e32 v8, -2, v7
	global_load_ushort v8, v8, s[8:9]
	v_lshrrev_b32_e32 v7, 1, v7
	v_add_u32_e32 v9, 1, v7
	s_waitcnt vmcnt(0)
	v_and_b32_e32 v8, s18, v8
	v_cmp_gt_u16_e32 vcc, v1, v8
	v_cndmask_b32_e64 v10, 0, 1, vcc
	v_cmp_le_u16_e32 vcc, v8, v1
	v_cndmask_b32_e64 v8, 0, 1, vcc
	v_cndmask_b32_e64 v8, v8, v10, s[0:1]
	v_and_b32_e32 v8, 1, v8
	v_cmp_eq_u32_e32 vcc, 1, v8
	v_cndmask_b32_e32 v5, v7, v5, vcc
	v_cndmask_b32_e32 v0, v0, v9, vcc
	v_cmp_ge_u32_e32 vcc, v0, v5
	s_or_b64 s[2:3], vcc, s[2:3]
	s_andn2_b64 exec, exec, s[2:3]
	s_cbranch_execnz .LBB22_21
; %bb.22:
	s_or_b64 exec, exec, s[2:3]
.LBB22_23:
	v_add_u32_e32 v0, v0, v4
	v_mov_b32_e32 v1, 0
	v_lshlrev_b64 v[4:5], 1, v[0:1]
	v_mov_b32_e32 v7, s11
	v_add_co_u32_e32 v4, vcc, s10, v4
	v_addc_co_u32_e32 v5, vcc, v7, v5, vcc
	v_lshlrev_b64 v[0:1], 3, v[0:1]
	s_waitcnt vmcnt(0)
	global_store_short v[4:5], v6, off
	v_mov_b32_e32 v4, s15
	v_add_co_u32_e32 v0, vcc, s14, v0
	v_addc_co_u32_e32 v1, vcc, v4, v1, vcc
	s_mov_b64 s[4:5], -1
.LBB22_24:
	s_and_b64 exec, exec, s[4:5]
	s_cbranch_execz .LBB22_26
; %bb.25:
	s_waitcnt vmcnt(1)
	global_store_dwordx2 v[0:1], v[2:3], off
.LBB22_26:
	s_endpgm
	.section	.rodata,"a",@progbits
	.p2align	6, 0x0
	.amdhsa_kernel _ZN7rocprim17ROCPRIM_304000_NS6detail33device_block_merge_oddeven_kernelINS1_37wrapped_merge_sort_block_merge_configINS0_14default_configEtN2at4cuda3cub6detail10OpaqueTypeILi8EEEEEPtSC_PSA_SD_jNS1_19radix_merge_compareILb0ELb1EtNS0_19identity_decomposerEEEEEvT0_T1_T2_T3_T4_SL_T5_
		.amdhsa_group_segment_fixed_size 0
		.amdhsa_private_segment_fixed_size 0
		.amdhsa_kernarg_size 44
		.amdhsa_user_sgpr_count 6
		.amdhsa_user_sgpr_private_segment_buffer 1
		.amdhsa_user_sgpr_dispatch_ptr 0
		.amdhsa_user_sgpr_queue_ptr 0
		.amdhsa_user_sgpr_kernarg_segment_ptr 1
		.amdhsa_user_sgpr_dispatch_id 0
		.amdhsa_user_sgpr_flat_scratch_init 0
		.amdhsa_user_sgpr_kernarg_preload_length 0
		.amdhsa_user_sgpr_kernarg_preload_offset 0
		.amdhsa_user_sgpr_private_segment_size 0
		.amdhsa_uses_dynamic_stack 0
		.amdhsa_system_sgpr_private_segment_wavefront_offset 0
		.amdhsa_system_sgpr_workgroup_id_x 1
		.amdhsa_system_sgpr_workgroup_id_y 0
		.amdhsa_system_sgpr_workgroup_id_z 0
		.amdhsa_system_sgpr_workgroup_info 0
		.amdhsa_system_vgpr_workitem_id 0
		.amdhsa_next_free_vgpr 11
		.amdhsa_next_free_sgpr 24
		.amdhsa_accum_offset 12
		.amdhsa_reserve_vcc 1
		.amdhsa_reserve_flat_scratch 0
		.amdhsa_float_round_mode_32 0
		.amdhsa_float_round_mode_16_64 0
		.amdhsa_float_denorm_mode_32 3
		.amdhsa_float_denorm_mode_16_64 3
		.amdhsa_dx10_clamp 1
		.amdhsa_ieee_mode 1
		.amdhsa_fp16_overflow 0
		.amdhsa_tg_split 0
		.amdhsa_exception_fp_ieee_invalid_op 0
		.amdhsa_exception_fp_denorm_src 0
		.amdhsa_exception_fp_ieee_div_zero 0
		.amdhsa_exception_fp_ieee_overflow 0
		.amdhsa_exception_fp_ieee_underflow 0
		.amdhsa_exception_fp_ieee_inexact 0
		.amdhsa_exception_int_div_zero 0
	.end_amdhsa_kernel
	.section	.text._ZN7rocprim17ROCPRIM_304000_NS6detail33device_block_merge_oddeven_kernelINS1_37wrapped_merge_sort_block_merge_configINS0_14default_configEtN2at4cuda3cub6detail10OpaqueTypeILi8EEEEEPtSC_PSA_SD_jNS1_19radix_merge_compareILb0ELb1EtNS0_19identity_decomposerEEEEEvT0_T1_T2_T3_T4_SL_T5_,"axG",@progbits,_ZN7rocprim17ROCPRIM_304000_NS6detail33device_block_merge_oddeven_kernelINS1_37wrapped_merge_sort_block_merge_configINS0_14default_configEtN2at4cuda3cub6detail10OpaqueTypeILi8EEEEEPtSC_PSA_SD_jNS1_19radix_merge_compareILb0ELb1EtNS0_19identity_decomposerEEEEEvT0_T1_T2_T3_T4_SL_T5_,comdat
.Lfunc_end22:
	.size	_ZN7rocprim17ROCPRIM_304000_NS6detail33device_block_merge_oddeven_kernelINS1_37wrapped_merge_sort_block_merge_configINS0_14default_configEtN2at4cuda3cub6detail10OpaqueTypeILi8EEEEEPtSC_PSA_SD_jNS1_19radix_merge_compareILb0ELb1EtNS0_19identity_decomposerEEEEEvT0_T1_T2_T3_T4_SL_T5_, .Lfunc_end22-_ZN7rocprim17ROCPRIM_304000_NS6detail33device_block_merge_oddeven_kernelINS1_37wrapped_merge_sort_block_merge_configINS0_14default_configEtN2at4cuda3cub6detail10OpaqueTypeILi8EEEEEPtSC_PSA_SD_jNS1_19radix_merge_compareILb0ELb1EtNS0_19identity_decomposerEEEEEvT0_T1_T2_T3_T4_SL_T5_
                                        ; -- End function
	.section	.AMDGPU.csdata,"",@progbits
; Kernel info:
; codeLenInByte = 840
; NumSgprs: 28
; NumVgprs: 11
; NumAgprs: 0
; TotalNumVgprs: 11
; ScratchSize: 0
; MemoryBound: 0
; FloatMode: 240
; IeeeMode: 1
; LDSByteSize: 0 bytes/workgroup (compile time only)
; SGPRBlocks: 3
; VGPRBlocks: 1
; NumSGPRsForWavesPerEU: 28
; NumVGPRsForWavesPerEU: 11
; AccumOffset: 12
; Occupancy: 8
; WaveLimiterHint : 0
; COMPUTE_PGM_RSRC2:SCRATCH_EN: 0
; COMPUTE_PGM_RSRC2:USER_SGPR: 6
; COMPUTE_PGM_RSRC2:TRAP_HANDLER: 0
; COMPUTE_PGM_RSRC2:TGID_X_EN: 1
; COMPUTE_PGM_RSRC2:TGID_Y_EN: 0
; COMPUTE_PGM_RSRC2:TGID_Z_EN: 0
; COMPUTE_PGM_RSRC2:TIDIG_COMP_CNT: 0
; COMPUTE_PGM_RSRC3_GFX90A:ACCUM_OFFSET: 2
; COMPUTE_PGM_RSRC3_GFX90A:TG_SPLIT: 0
	.section	.text._ZN7rocprim17ROCPRIM_304000_NS6detail26onesweep_histograms_kernelINS1_34wrapped_radix_sort_onesweep_configINS0_14default_configEtN2at4cuda3cub6detail10OpaqueTypeILi8EEEEELb0EPKtmNS0_19identity_decomposerEEEvT1_PT2_SG_SG_T3_jj,"axG",@progbits,_ZN7rocprim17ROCPRIM_304000_NS6detail26onesweep_histograms_kernelINS1_34wrapped_radix_sort_onesweep_configINS0_14default_configEtN2at4cuda3cub6detail10OpaqueTypeILi8EEEEELb0EPKtmNS0_19identity_decomposerEEEvT1_PT2_SG_SG_T3_jj,comdat
	.protected	_ZN7rocprim17ROCPRIM_304000_NS6detail26onesweep_histograms_kernelINS1_34wrapped_radix_sort_onesweep_configINS0_14default_configEtN2at4cuda3cub6detail10OpaqueTypeILi8EEEEELb0EPKtmNS0_19identity_decomposerEEEvT1_PT2_SG_SG_T3_jj ; -- Begin function _ZN7rocprim17ROCPRIM_304000_NS6detail26onesweep_histograms_kernelINS1_34wrapped_radix_sort_onesweep_configINS0_14default_configEtN2at4cuda3cub6detail10OpaqueTypeILi8EEEEELb0EPKtmNS0_19identity_decomposerEEEvT1_PT2_SG_SG_T3_jj
	.globl	_ZN7rocprim17ROCPRIM_304000_NS6detail26onesweep_histograms_kernelINS1_34wrapped_radix_sort_onesweep_configINS0_14default_configEtN2at4cuda3cub6detail10OpaqueTypeILi8EEEEELb0EPKtmNS0_19identity_decomposerEEEvT1_PT2_SG_SG_T3_jj
	.p2align	8
	.type	_ZN7rocprim17ROCPRIM_304000_NS6detail26onesweep_histograms_kernelINS1_34wrapped_radix_sort_onesweep_configINS0_14default_configEtN2at4cuda3cub6detail10OpaqueTypeILi8EEEEELb0EPKtmNS0_19identity_decomposerEEEvT1_PT2_SG_SG_T3_jj,@function
_ZN7rocprim17ROCPRIM_304000_NS6detail26onesweep_histograms_kernelINS1_34wrapped_radix_sort_onesweep_configINS0_14default_configEtN2at4cuda3cub6detail10OpaqueTypeILi8EEEEELb0EPKtmNS0_19identity_decomposerEEEvT1_PT2_SG_SG_T3_jj: ; @_ZN7rocprim17ROCPRIM_304000_NS6detail26onesweep_histograms_kernelINS1_34wrapped_radix_sort_onesweep_configINS0_14default_configEtN2at4cuda3cub6detail10OpaqueTypeILi8EEEEELb0EPKtmNS0_19identity_decomposerEEEvT1_PT2_SG_SG_T3_jj
; %bb.0:
	s_load_dwordx8 s[12:19], s[4:5], 0x0
	s_load_dwordx2 s[20:21], s[4:5], 0x24
	s_mov_b32 s7, 0
	s_mul_i32 s1, s6, 0x3000
	s_mul_hi_u32 s0, s6, 0x3000
	s_waitcnt lgkmcnt(0)
	v_pk_mov_b32 v[2:3], s[18:19], s[18:19] op_sel:[0,1]
	v_cmp_ge_u64_e32 vcc, s[6:7], v[2:3]
	s_add_u32 s12, s12, s1
	s_addc_u32 s13, s13, s0
	s_mov_b64 s[0:1], -1
	v_lshlrev_b32_e32 v1, 1, v0
	s_cbranch_vccz .LBB23_44
; %bb.1:
	s_mul_i32 s0, s18, 0xffffe800
	s_add_i32 s16, s0, s16
	v_mov_b32_e32 v3, s13
	v_add_co_u32_e32 v2, vcc, s12, v1
	v_mov_b32_e32 v7, 0
	v_addc_co_u32_e32 v3, vcc, 0, v3, vcc
	v_cmp_gt_u32_e64 s[10:11], s16, v0
	v_mov_b32_e32 v9, 0
	s_and_saveexec_b64 s[0:1], s[10:11]
	s_cbranch_execz .LBB23_3
; %bb.2:
	global_load_ushort v9, v[2:3], off
.LBB23_3:
	s_or_b64 exec, exec, s[0:1]
	v_or_b32_e32 v4, 0x400, v0
	v_cmp_gt_u32_e64 s[8:9], s16, v4
	s_and_saveexec_b64 s[0:1], s[8:9]
	s_cbranch_execz .LBB23_5
; %bb.4:
	global_load_ushort v7, v[2:3], off offset:2048
.LBB23_5:
	s_or_b64 exec, exec, s[0:1]
	v_or_b32_e32 v4, 0x800, v0
	v_cmp_gt_u32_e64 s[6:7], s16, v4
	v_mov_b32_e32 v5, 0
	v_mov_b32_e32 v8, 0
	s_and_saveexec_b64 s[0:1], s[6:7]
	s_cbranch_execz .LBB23_7
; %bb.6:
	v_add_co_u32_e32 v10, vcc, 0x1000, v2
	v_addc_co_u32_e32 v11, vcc, 0, v3, vcc
	global_load_ushort v8, v[10:11], off
.LBB23_7:
	s_or_b64 exec, exec, s[0:1]
	v_or_b32_e32 v4, 0xc00, v0
	v_cmp_gt_u32_e64 s[4:5], s16, v4
	s_and_saveexec_b64 s[0:1], s[4:5]
	s_cbranch_execz .LBB23_9
; %bb.8:
	v_add_co_u32_e32 v4, vcc, 0x1000, v2
	v_addc_co_u32_e32 v5, vcc, 0, v3, vcc
	global_load_ushort v5, v[4:5], off offset:2048
.LBB23_9:
	s_or_b64 exec, exec, s[0:1]
	v_or_b32_e32 v4, 0x1000, v0
	v_cmp_gt_u32_e64 s[2:3], s16, v4
	v_mov_b32_e32 v4, 0
	v_mov_b32_e32 v6, 0
	s_and_saveexec_b64 s[0:1], s[2:3]
	s_cbranch_execz .LBB23_11
; %bb.10:
	v_add_co_u32_e32 v10, vcc, 0x2000, v2
	v_addc_co_u32_e32 v11, vcc, 0, v3, vcc
	global_load_ushort v6, v[10:11], off
.LBB23_11:
	s_or_b64 exec, exec, s[0:1]
	v_or_b32_e32 v10, 0x1400, v0
	v_cmp_gt_u32_e64 s[0:1], s16, v10
	s_and_saveexec_b64 s[16:17], s[0:1]
	s_cbranch_execz .LBB23_13
; %bb.12:
	v_add_co_u32_e32 v2, vcc, 0x2000, v2
	v_addc_co_u32_e32 v3, vcc, 0, v3, vcc
	global_load_ushort v4, v[2:3], off offset:2048
.LBB23_13:
	s_or_b64 exec, exec, s[16:17]
	s_cmp_gt_u32 s21, s20
	v_lshlrev_b32_e32 v2, 2, v0
	v_mov_b32_e32 v3, 0
	s_cselect_b64 s[16:17], -1, 0
	s_cmp_le_u32 s21, s20
	ds_write2st64_b32 v2, v3, v3 offset1:16
	s_waitcnt lgkmcnt(0)
	s_barrier
	s_cbranch_scc1 .LBB23_38
; %bb.14:
	v_and_b32_e32 v2, 3, v0
	v_lshlrev_b32_e32 v2, 2, v2
	s_sub_i32 s22, s21, s20
	v_mov_b32_e32 v3, 1
	s_mov_b32 s23, s22
	v_mov_b32_e32 v10, v2
	s_mov_b32 s24, s20
	s_branch .LBB23_16
.LBB23_15:                              ;   in Loop: Header=BB23_16 Depth=1
	s_or_b64 exec, exec, s[18:19]
	s_add_i32 s24, s24, 8
	s_add_i32 s23, s23, -8
	s_cmp_lt_u32 s24, s21
	v_add_u32_e32 v10, 0x1000, v10
	s_cbranch_scc0 .LBB23_18
.LBB23_16:                              ; =>This Inner Loop Header: Depth=1
	s_and_saveexec_b64 s[18:19], s[10:11]
	s_cbranch_execz .LBB23_15
; %bb.17:                               ;   in Loop: Header=BB23_16 Depth=1
	s_min_u32 s25, s23, 8
	s_waitcnt vmcnt(0)
	v_lshrrev_b32_e32 v11, s24, v9
	v_bfe_u32 v11, v11, 0, s25
	v_lshl_add_u32 v11, v11, 4, v10
	ds_add_u32 v11, v3
	s_branch .LBB23_15
.LBB23_18:
	v_mov_b32_e32 v3, 1
	s_mov_b32 s18, s22
	s_waitcnt vmcnt(0)
	v_mov_b32_e32 v9, v2
	s_mov_b32 s19, s20
	s_branch .LBB23_20
.LBB23_19:                              ;   in Loop: Header=BB23_20 Depth=1
	s_or_b64 exec, exec, s[10:11]
	s_add_i32 s19, s19, 8
	s_add_i32 s18, s18, -8
	s_cmp_lt_u32 s19, s21
	v_add_u32_e32 v9, 0x1000, v9
	s_cbranch_scc0 .LBB23_22
.LBB23_20:                              ; =>This Inner Loop Header: Depth=1
	s_and_saveexec_b64 s[10:11], s[8:9]
	s_cbranch_execz .LBB23_19
; %bb.21:                               ;   in Loop: Header=BB23_20 Depth=1
	s_min_u32 s23, s18, 8
	v_lshrrev_b32_e32 v10, s19, v7
	v_bfe_u32 v10, v10, 0, s23
	v_lshl_add_u32 v10, v10, 4, v9
	ds_add_u32 v10, v3
	s_branch .LBB23_19
.LBB23_22:
	v_mov_b32_e32 v3, 1
	s_mov_b32 s10, s22
	v_mov_b32_e32 v7, v2
	s_mov_b32 s11, s20
	s_branch .LBB23_24
.LBB23_23:                              ;   in Loop: Header=BB23_24 Depth=1
	s_or_b64 exec, exec, s[8:9]
	s_add_i32 s11, s11, 8
	s_add_i32 s10, s10, -8
	s_cmp_lt_u32 s11, s21
	v_add_u32_e32 v7, 0x1000, v7
	s_cbranch_scc0 .LBB23_26
.LBB23_24:                              ; =>This Inner Loop Header: Depth=1
	s_and_saveexec_b64 s[8:9], s[6:7]
	s_cbranch_execz .LBB23_23
; %bb.25:                               ;   in Loop: Header=BB23_24 Depth=1
	s_min_u32 s18, s10, 8
	v_lshrrev_b32_e32 v9, s11, v8
	v_bfe_u32 v9, v9, 0, s18
	v_lshl_add_u32 v9, v9, 4, v7
	ds_add_u32 v9, v3
	s_branch .LBB23_23
.LBB23_26:
	v_mov_b32_e32 v3, 1
	s_mov_b32 s8, s22
	;; [unrolled: 23-line block ×4, first 2 shown]
	s_branch .LBB23_36
.LBB23_35:                              ;   in Loop: Header=BB23_36 Depth=1
	s_or_b64 exec, exec, s[2:3]
	s_add_i32 s4, s4, 8
	s_add_i32 s22, s22, -8
	s_cmp_lt_u32 s4, s21
	v_add_u32_e32 v2, 0x1000, v2
	s_cbranch_scc0 .LBB23_38
.LBB23_36:                              ; =>This Inner Loop Header: Depth=1
	s_and_saveexec_b64 s[2:3], s[0:1]
	s_cbranch_execz .LBB23_35
; %bb.37:                               ;   in Loop: Header=BB23_36 Depth=1
	s_min_u32 s5, s22, 8
	v_lshrrev_b32_e32 v5, s4, v4
	v_bfe_u32 v5, v5, 0, s5
	v_lshl_add_u32 v5, v5, 4, v2
	ds_add_u32 v5, v3
	s_branch .LBB23_35
.LBB23_38:
	s_and_b64 vcc, exec, s[16:17]
	s_waitcnt lgkmcnt(0)
	s_barrier
	s_cbranch_vccz .LBB23_43
; %bb.39:
	s_movk_i32 s0, 0x100
	v_cmp_gt_u32_e32 vcc, s0, v0
	s_waitcnt vmcnt(0)
	v_lshlrev_b32_e32 v4, 4, v0
	v_mov_b32_e32 v3, 0
	v_mov_b32_e32 v2, v0
	s_mov_b32 s4, s20
	s_branch .LBB23_41
.LBB23_40:                              ;   in Loop: Header=BB23_41 Depth=1
	s_or_b64 exec, exec, s[2:3]
	s_add_i32 s4, s4, 8
	v_add_u32_e32 v2, 0x100, v2
	s_cmp_lt_u32 s4, s21
	v_add_u32_e32 v4, 0x1000, v4
	s_cbranch_scc0 .LBB23_43
.LBB23_41:                              ; =>This Inner Loop Header: Depth=1
	s_and_saveexec_b64 s[2:3], vcc
	s_cbranch_execz .LBB23_40
; %bb.42:                               ;   in Loop: Header=BB23_41 Depth=1
	ds_read2_b32 v[6:7], v4 offset1:1
	ds_read2_b32 v[8:9], v4 offset0:2 offset1:3
	v_lshlrev_b64 v[10:11], 3, v[2:3]
	v_mov_b32_e32 v5, s15
	s_waitcnt lgkmcnt(1)
	v_add_u32_e32 v6, v7, v6
	s_waitcnt lgkmcnt(0)
	v_add3_u32 v6, v6, v8, v9
	v_add_co_u32_e64 v8, s[0:1], s14, v10
	v_addc_co_u32_e64 v9, s[0:1], v5, v11, s[0:1]
	v_mov_b32_e32 v7, v3
	global_atomic_add_x2 v[8:9], v[6:7], off
	s_branch .LBB23_40
.LBB23_43:
	s_mov_b64 s[0:1], 0
.LBB23_44:
	s_and_b64 vcc, exec, s[0:1]
	s_cbranch_vccz .LBB23_68
; %bb.45:
	v_mov_b32_e32 v2, s13
	s_waitcnt vmcnt(0)
	v_add_co_u32_e32 v4, vcc, s12, v1
	v_addc_co_u32_e32 v5, vcc, 0, v2, vcc
	v_add_co_u32_e32 v2, vcc, 0x1000, v4
	v_addc_co_u32_e32 v3, vcc, 0, v5, vcc
	v_add_co_u32_e32 v12, vcc, 0x2000, v4
	global_load_ushort v8, v1, s[12:13] offset:2048
	v_addc_co_u32_e32 v13, vcc, 0, v5, vcc
	global_load_ushort v9, v[2:3], off
	global_load_ushort v6, v[2:3], off offset:2048
	global_load_ushort v5, v[12:13], off
	global_load_ushort v10, v1, s[12:13]
	global_load_ushort v4, v[12:13], off offset:2048
	s_cmp_eq_u32 s20, 0
	s_cselect_b64 s[0:1], -1, 0
	s_cmp_eq_u32 s21, 16
	s_cselect_b64 s[2:3], -1, 0
	s_and_b64 s[2:3], s[0:1], s[2:3]
	v_mov_b32_e32 v2, 0
	v_lshlrev_b32_e32 v1, 2, v0
	v_and_b32_e32 v7, 3, v0
	s_mov_b64 s[0:1], -1
	s_and_b64 vcc, exec, s[2:3]
	ds_write2st64_b32 v1, v2, v2 offset1:16
	s_waitcnt lgkmcnt(0)
	s_cbranch_vccnz .LBB23_65
; %bb.46:
	s_cmp_gt_u32 s21, s20
	s_cselect_b64 s[0:1], -1, 0
	s_and_b64 vcc, exec, s[0:1]
	s_barrier
	s_cbranch_vccz .LBB23_59
; %bb.47:
	v_lshlrev_b32_e32 v2, 2, v7
	s_sub_i32 s2, s21, s20
	v_mov_b32_e32 v3, 1
	s_mov_b32 s3, s2
	v_mov_b32_e32 v11, v2
	s_mov_b32 s4, s20
.LBB23_48:                              ; =>This Inner Loop Header: Depth=1
	s_min_u32 s5, s3, 8
	s_waitcnt vmcnt(1)
	v_lshrrev_b32_e32 v12, s4, v10
	v_bfe_u32 v12, v12, 0, s5
	v_lshl_add_u32 v12, v12, 4, v11
	ds_add_u32 v12, v3
	s_add_i32 s4, s4, 8
	s_add_i32 s3, s3, -8
	s_cmp_ge_u32 s4, s21
	v_add_u32_e32 v11, 0x1000, v11
	s_cbranch_scc0 .LBB23_48
; %bb.49:
	v_mov_b32_e32 v3, 1
	s_mov_b32 s3, s2
	v_mov_b32_e32 v11, v2
	s_mov_b32 s4, s20
.LBB23_50:                              ; =>This Inner Loop Header: Depth=1
	s_min_u32 s5, s3, 8
	v_lshrrev_b32_e32 v12, s4, v8
	v_bfe_u32 v12, v12, 0, s5
	v_lshl_add_u32 v12, v12, 4, v11
	ds_add_u32 v12, v3
	s_add_i32 s4, s4, 8
	s_add_i32 s3, s3, -8
	s_cmp_lt_u32 s4, s21
	v_add_u32_e32 v11, 0x1000, v11
	s_cbranch_scc1 .LBB23_50
; %bb.51:
	v_mov_b32_e32 v3, 1
	s_mov_b32 s3, s2
	v_mov_b32_e32 v11, v2
	s_mov_b32 s4, s20
.LBB23_52:                              ; =>This Inner Loop Header: Depth=1
	s_min_u32 s5, s3, 8
	v_lshrrev_b32_e32 v12, s4, v9
	v_bfe_u32 v12, v12, 0, s5
	v_lshl_add_u32 v12, v12, 4, v11
	ds_add_u32 v12, v3
	s_add_i32 s4, s4, 8
	s_add_i32 s3, s3, -8
	s_cmp_lt_u32 s4, s21
	v_add_u32_e32 v11, 0x1000, v11
	s_cbranch_scc1 .LBB23_52
	;; [unrolled: 16-line block ×4, first 2 shown]
; %bb.57:
	v_mov_b32_e32 v3, 1
	s_mov_b32 s3, s20
.LBB23_58:                              ; =>This Inner Loop Header: Depth=1
	s_min_u32 s4, s2, 8
	s_waitcnt vmcnt(0)
	v_lshrrev_b32_e32 v11, s3, v4
	v_bfe_u32 v11, v11, 0, s4
	v_lshl_add_u32 v11, v11, 4, v2
	ds_add_u32 v11, v3
	s_add_i32 s3, s3, 8
	s_add_i32 s2, s2, -8
	s_cmp_lt_u32 s3, s21
	v_add_u32_e32 v2, 0x1000, v2
	s_cbranch_scc1 .LBB23_58
.LBB23_59:
	s_and_b64 vcc, exec, s[0:1]
	s_waitcnt lgkmcnt(0)
	s_barrier
	s_cbranch_vccz .LBB23_64
; %bb.60:
	s_movk_i32 s0, 0x100
	v_cmp_gt_u32_e32 vcc, s0, v0
	v_lshlrev_b32_e32 v11, 4, v0
	v_mov_b32_e32 v3, 0
	v_mov_b32_e32 v2, v0
	s_branch .LBB23_62
.LBB23_61:                              ;   in Loop: Header=BB23_62 Depth=1
	s_or_b64 exec, exec, s[2:3]
	s_add_i32 s20, s20, 8
	v_add_u32_e32 v2, 0x100, v2
	s_cmp_ge_u32 s20, s21
	v_add_u32_e32 v11, 0x1000, v11
	s_cbranch_scc1 .LBB23_64
.LBB23_62:                              ; =>This Inner Loop Header: Depth=1
	s_and_saveexec_b64 s[2:3], vcc
	s_cbranch_execz .LBB23_61
; %bb.63:                               ;   in Loop: Header=BB23_62 Depth=1
	ds_read2_b32 v[12:13], v11 offset1:1
	ds_read2_b32 v[14:15], v11 offset0:2 offset1:3
	v_lshlrev_b64 v[16:17], 3, v[2:3]
	v_mov_b32_e32 v18, s15
	s_waitcnt lgkmcnt(1)
	v_add_u32_e32 v12, v13, v12
	s_waitcnt lgkmcnt(0)
	v_add3_u32 v12, v12, v14, v15
	v_add_co_u32_e64 v14, s[0:1], s14, v16
	v_addc_co_u32_e64 v15, s[0:1], v18, v17, s[0:1]
	v_mov_b32_e32 v13, v3
	global_atomic_add_x2 v[14:15], v[12:13], off
	s_branch .LBB23_61
.LBB23_64:
	s_mov_b64 s[0:1], 0
.LBB23_65:
	s_and_b64 vcc, exec, s[0:1]
	s_cbranch_vccz .LBB23_68
; %bb.66:
	s_waitcnt vmcnt(1)
	v_lshlrev_b32_e32 v2, 2, v10
	s_movk_i32 s0, 0x3fc
	v_and_or_b32 v2, v2, s0, v7
	v_lshlrev_b32_e32 v2, 2, v2
	v_mov_b32_e32 v3, 1
	s_barrier
	ds_add_u32 v2, v3
	v_bfe_u32 v2, v10, 8, 8
	v_lshl_or_b32 v2, v2, 2, v7
	v_lshlrev_b32_e32 v2, 2, v2
	ds_add_u32 v2, v3 offset:4096
	v_lshlrev_b32_e32 v2, 2, v8
	v_and_or_b32 v2, v2, s0, v7
	v_lshlrev_b32_e32 v2, 2, v2
	ds_add_u32 v2, v3
	v_bfe_u32 v2, v8, 8, 8
	v_lshl_or_b32 v2, v2, 2, v7
	v_lshlrev_b32_e32 v2, 2, v2
	ds_add_u32 v2, v3 offset:4096
	v_lshlrev_b32_e32 v2, 2, v9
	v_and_or_b32 v2, v2, s0, v7
	v_lshlrev_b32_e32 v2, 2, v2
	;; [unrolled: 8-line block ×4, first 2 shown]
	ds_add_u32 v2, v3
	v_bfe_u32 v2, v5, 8, 8
	v_lshl_or_b32 v2, v2, 2, v7
	v_lshlrev_b32_e32 v2, 2, v2
	ds_add_u32 v2, v3 offset:4096
	s_waitcnt vmcnt(0)
	v_lshlrev_b32_e32 v2, 2, v4
	v_and_or_b32 v2, v2, s0, v7
	v_lshlrev_b32_e32 v2, 2, v2
	ds_add_u32 v2, v3
	v_bfe_u32 v2, v4, 8, 8
	v_lshl_or_b32 v2, v2, 2, v7
	v_lshlrev_b32_e32 v2, 2, v2
	ds_add_u32 v2, v3 offset:4096
	s_movk_i32 s0, 0x100
	v_cmp_gt_u32_e32 vcc, s0, v0
	s_waitcnt lgkmcnt(0)
	s_barrier
	s_and_saveexec_b64 s[0:1], vcc
	s_cbranch_execz .LBB23_68
; %bb.67:
	v_mad_u32_u24 v6, v0, 12, v1
	ds_read2_b32 v[2:3], v6 offset1:1
	ds_read2_b32 v[4:5], v6 offset0:2 offset1:3
	v_lshlrev_b32_e32 v7, 3, v0
	v_mov_b32_e32 v1, 0
	v_add_u32_e32 v8, 0x1000, v6
	s_waitcnt lgkmcnt(1)
	v_add_u32_e32 v0, v3, v2
	s_waitcnt lgkmcnt(0)
	v_add3_u32 v0, v0, v4, v5
	global_atomic_add_x2 v7, v[0:1], s[14:15]
	v_add_u32_e32 v0, 0x1008, v6
	ds_read2_b32 v[2:3], v8 offset1:1
	ds_read2_b32 v[4:5], v0 offset1:1
	s_waitcnt lgkmcnt(1)
	v_add_u32_e32 v0, v3, v2
	s_waitcnt lgkmcnt(0)
	v_add3_u32 v0, v0, v4, v5
	global_atomic_add_x2 v7, v[0:1], s[14:15] offset:2048
.LBB23_68:
	s_endpgm
	.section	.rodata,"a",@progbits
	.p2align	6, 0x0
	.amdhsa_kernel _ZN7rocprim17ROCPRIM_304000_NS6detail26onesweep_histograms_kernelINS1_34wrapped_radix_sort_onesweep_configINS0_14default_configEtN2at4cuda3cub6detail10OpaqueTypeILi8EEEEELb0EPKtmNS0_19identity_decomposerEEEvT1_PT2_SG_SG_T3_jj
		.amdhsa_group_segment_fixed_size 8192
		.amdhsa_private_segment_fixed_size 0
		.amdhsa_kernarg_size 44
		.amdhsa_user_sgpr_count 6
		.amdhsa_user_sgpr_private_segment_buffer 1
		.amdhsa_user_sgpr_dispatch_ptr 0
		.amdhsa_user_sgpr_queue_ptr 0
		.amdhsa_user_sgpr_kernarg_segment_ptr 1
		.amdhsa_user_sgpr_dispatch_id 0
		.amdhsa_user_sgpr_flat_scratch_init 0
		.amdhsa_user_sgpr_kernarg_preload_length 0
		.amdhsa_user_sgpr_kernarg_preload_offset 0
		.amdhsa_user_sgpr_private_segment_size 0
		.amdhsa_uses_dynamic_stack 0
		.amdhsa_system_sgpr_private_segment_wavefront_offset 0
		.amdhsa_system_sgpr_workgroup_id_x 1
		.amdhsa_system_sgpr_workgroup_id_y 0
		.amdhsa_system_sgpr_workgroup_id_z 0
		.amdhsa_system_sgpr_workgroup_info 0
		.amdhsa_system_vgpr_workitem_id 0
		.amdhsa_next_free_vgpr 19
		.amdhsa_next_free_sgpr 26
		.amdhsa_accum_offset 20
		.amdhsa_reserve_vcc 1
		.amdhsa_reserve_flat_scratch 0
		.amdhsa_float_round_mode_32 0
		.amdhsa_float_round_mode_16_64 0
		.amdhsa_float_denorm_mode_32 3
		.amdhsa_float_denorm_mode_16_64 3
		.amdhsa_dx10_clamp 1
		.amdhsa_ieee_mode 1
		.amdhsa_fp16_overflow 0
		.amdhsa_tg_split 0
		.amdhsa_exception_fp_ieee_invalid_op 0
		.amdhsa_exception_fp_denorm_src 0
		.amdhsa_exception_fp_ieee_div_zero 0
		.amdhsa_exception_fp_ieee_overflow 0
		.amdhsa_exception_fp_ieee_underflow 0
		.amdhsa_exception_fp_ieee_inexact 0
		.amdhsa_exception_int_div_zero 0
	.end_amdhsa_kernel
	.section	.text._ZN7rocprim17ROCPRIM_304000_NS6detail26onesweep_histograms_kernelINS1_34wrapped_radix_sort_onesweep_configINS0_14default_configEtN2at4cuda3cub6detail10OpaqueTypeILi8EEEEELb0EPKtmNS0_19identity_decomposerEEEvT1_PT2_SG_SG_T3_jj,"axG",@progbits,_ZN7rocprim17ROCPRIM_304000_NS6detail26onesweep_histograms_kernelINS1_34wrapped_radix_sort_onesweep_configINS0_14default_configEtN2at4cuda3cub6detail10OpaqueTypeILi8EEEEELb0EPKtmNS0_19identity_decomposerEEEvT1_PT2_SG_SG_T3_jj,comdat
.Lfunc_end23:
	.size	_ZN7rocprim17ROCPRIM_304000_NS6detail26onesweep_histograms_kernelINS1_34wrapped_radix_sort_onesweep_configINS0_14default_configEtN2at4cuda3cub6detail10OpaqueTypeILi8EEEEELb0EPKtmNS0_19identity_decomposerEEEvT1_PT2_SG_SG_T3_jj, .Lfunc_end23-_ZN7rocprim17ROCPRIM_304000_NS6detail26onesweep_histograms_kernelINS1_34wrapped_radix_sort_onesweep_configINS0_14default_configEtN2at4cuda3cub6detail10OpaqueTypeILi8EEEEELb0EPKtmNS0_19identity_decomposerEEEvT1_PT2_SG_SG_T3_jj
                                        ; -- End function
	.section	.AMDGPU.csdata,"",@progbits
; Kernel info:
; codeLenInByte = 2416
; NumSgprs: 30
; NumVgprs: 19
; NumAgprs: 0
; TotalNumVgprs: 19
; ScratchSize: 0
; MemoryBound: 0
; FloatMode: 240
; IeeeMode: 1
; LDSByteSize: 8192 bytes/workgroup (compile time only)
; SGPRBlocks: 3
; VGPRBlocks: 2
; NumSGPRsForWavesPerEU: 30
; NumVGPRsForWavesPerEU: 19
; AccumOffset: 20
; Occupancy: 8
; WaveLimiterHint : 1
; COMPUTE_PGM_RSRC2:SCRATCH_EN: 0
; COMPUTE_PGM_RSRC2:USER_SGPR: 6
; COMPUTE_PGM_RSRC2:TRAP_HANDLER: 0
; COMPUTE_PGM_RSRC2:TGID_X_EN: 1
; COMPUTE_PGM_RSRC2:TGID_Y_EN: 0
; COMPUTE_PGM_RSRC2:TGID_Z_EN: 0
; COMPUTE_PGM_RSRC2:TIDIG_COMP_CNT: 0
; COMPUTE_PGM_RSRC3_GFX90A:ACCUM_OFFSET: 4
; COMPUTE_PGM_RSRC3_GFX90A:TG_SPLIT: 0
	.section	.text._ZN7rocprim17ROCPRIM_304000_NS6detail25onesweep_iteration_kernelINS1_34wrapped_radix_sort_onesweep_configINS0_14default_configEtN2at4cuda3cub6detail10OpaqueTypeILi8EEEEELb0EPKtPtPKSA_PSA_mNS0_19identity_decomposerEEEvT1_T2_T3_T4_jPT5_SO_PNS1_23onesweep_lookback_stateET6_jjj,"axG",@progbits,_ZN7rocprim17ROCPRIM_304000_NS6detail25onesweep_iteration_kernelINS1_34wrapped_radix_sort_onesweep_configINS0_14default_configEtN2at4cuda3cub6detail10OpaqueTypeILi8EEEEELb0EPKtPtPKSA_PSA_mNS0_19identity_decomposerEEEvT1_T2_T3_T4_jPT5_SO_PNS1_23onesweep_lookback_stateET6_jjj,comdat
	.protected	_ZN7rocprim17ROCPRIM_304000_NS6detail25onesweep_iteration_kernelINS1_34wrapped_radix_sort_onesweep_configINS0_14default_configEtN2at4cuda3cub6detail10OpaqueTypeILi8EEEEELb0EPKtPtPKSA_PSA_mNS0_19identity_decomposerEEEvT1_T2_T3_T4_jPT5_SO_PNS1_23onesweep_lookback_stateET6_jjj ; -- Begin function _ZN7rocprim17ROCPRIM_304000_NS6detail25onesweep_iteration_kernelINS1_34wrapped_radix_sort_onesweep_configINS0_14default_configEtN2at4cuda3cub6detail10OpaqueTypeILi8EEEEELb0EPKtPtPKSA_PSA_mNS0_19identity_decomposerEEEvT1_T2_T3_T4_jPT5_SO_PNS1_23onesweep_lookback_stateET6_jjj
	.globl	_ZN7rocprim17ROCPRIM_304000_NS6detail25onesweep_iteration_kernelINS1_34wrapped_radix_sort_onesweep_configINS0_14default_configEtN2at4cuda3cub6detail10OpaqueTypeILi8EEEEELb0EPKtPtPKSA_PSA_mNS0_19identity_decomposerEEEvT1_T2_T3_T4_jPT5_SO_PNS1_23onesweep_lookback_stateET6_jjj
	.p2align	8
	.type	_ZN7rocprim17ROCPRIM_304000_NS6detail25onesweep_iteration_kernelINS1_34wrapped_radix_sort_onesweep_configINS0_14default_configEtN2at4cuda3cub6detail10OpaqueTypeILi8EEEEELb0EPKtPtPKSA_PSA_mNS0_19identity_decomposerEEEvT1_T2_T3_T4_jPT5_SO_PNS1_23onesweep_lookback_stateET6_jjj,@function
_ZN7rocprim17ROCPRIM_304000_NS6detail25onesweep_iteration_kernelINS1_34wrapped_radix_sort_onesweep_configINS0_14default_configEtN2at4cuda3cub6detail10OpaqueTypeILi8EEEEELb0EPKtPtPKSA_PSA_mNS0_19identity_decomposerEEEvT1_T2_T3_T4_jPT5_SO_PNS1_23onesweep_lookback_stateET6_jjj: ; @_ZN7rocprim17ROCPRIM_304000_NS6detail25onesweep_iteration_kernelINS1_34wrapped_radix_sort_onesweep_configINS0_14default_configEtN2at4cuda3cub6detail10OpaqueTypeILi8EEEEELb0EPKtPtPKSA_PSA_mNS0_19identity_decomposerEEEvT1_T2_T3_T4_jPT5_SO_PNS1_23onesweep_lookback_stateET6_jjj
; %bb.0:
	s_load_dwordx4 s[48:51], s[4:5], 0x44
	s_load_dwordx8 s[36:43], s[4:5], 0x0
	s_load_dwordx4 s[44:47], s[4:5], 0x28
	s_load_dwordx2 s[34:35], s[4:5], 0x38
	s_mul_i32 s30, s6, 0x1800
	s_waitcnt lgkmcnt(0)
	s_cmp_ge_u32 s6, s50
	v_mbcnt_lo_u32_b32 v1, -1, 0
	s_cbranch_scc0 .LBB24_86
; %bb.1:
	s_load_dword s2, s[4:5], 0x20
	s_mulk_i32 s50, 0xe800
	s_mov_b32 s31, 0
	s_lshl_b64 s[0:1], s[30:31], 1
	v_and_b32_e32 v2, 0x3ff, v0
	s_waitcnt lgkmcnt(0)
	s_add_i32 s50, s50, s2
	s_add_u32 s0, s36, s0
	v_mbcnt_hi_u32_b32 v12, -1, v1
	s_addc_u32 s1, s37, s1
	v_and_b32_e32 v3, 0x3c0, v2
	v_lshlrev_b32_e32 v4, 1, v12
	v_mul_u32_u24_e32 v3, 6, v3
	v_mov_b32_e32 v5, s1
	v_add_co_u32_e32 v4, vcc, s0, v4
	v_addc_co_u32_e32 v5, vcc, 0, v5, vcc
	v_lshlrev_b32_e32 v6, 1, v3
	v_add_co_u32_e32 v4, vcc, v4, v6
	v_addc_co_u32_e32 v5, vcc, 0, v5, vcc
	v_or_b32_e32 v6, v12, v3
	v_cmp_gt_u32_e32 vcc, s50, v6
	v_mov_b32_e32 v8, -1
	v_mov_b32_e32 v9, -1
	s_and_saveexec_b64 s[0:1], vcc
	s_cbranch_execz .LBB24_3
; %bb.2:
	global_load_ushort v9, v[4:5], off
.LBB24_3:
	s_or_b64 exec, exec, s[0:1]
	v_add_u32_e32 v7, 64, v6
	v_cmp_gt_u32_e64 s[0:1], s50, v7
	s_and_saveexec_b64 s[2:3], s[0:1]
	s_cbranch_execz .LBB24_5
; %bb.4:
	global_load_ushort v8, v[4:5], off offset:128
.LBB24_5:
	s_or_b64 exec, exec, s[2:3]
	v_add_u32_e32 v7, 0x80, v6
	v_cmp_gt_u32_e64 s[2:3], s50, v7
	v_mov_b32_e32 v10, -1
	v_mov_b32_e32 v11, -1
	s_and_saveexec_b64 s[8:9], s[2:3]
	s_cbranch_execz .LBB24_7
; %bb.6:
	global_load_ushort v11, v[4:5], off offset:256
.LBB24_7:
	s_or_b64 exec, exec, s[8:9]
	v_add_u32_e32 v7, 0xc0, v6
	v_cmp_gt_u32_e64 s[26:27], s50, v7
	s_and_saveexec_b64 s[8:9], s[26:27]
	s_cbranch_execz .LBB24_9
; %bb.8:
	global_load_ushort v10, v[4:5], off offset:384
.LBB24_9:
	s_or_b64 exec, exec, s[8:9]
	v_add_u32_e32 v7, 0x100, v6
	v_cmp_gt_u32_e64 s[8:9], s50, v7
	v_mov_b32_e32 v13, -1
	v_mov_b32_e32 v14, -1
	s_and_saveexec_b64 s[10:11], s[8:9]
	s_cbranch_execz .LBB24_11
; %bb.10:
	global_load_ushort v14, v[4:5], off offset:512
.LBB24_11:
	s_or_b64 exec, exec, s[10:11]
	v_add_u32_e32 v6, 0x140, v6
	v_cmp_gt_u32_e64 s[10:11], s50, v6
	s_and_saveexec_b64 s[12:13], s[10:11]
	s_cbranch_execz .LBB24_13
; %bb.12:
	global_load_ushort v13, v[4:5], off offset:640
.LBB24_13:
	s_or_b64 exec, exec, s[12:13]
	s_load_dword s12, s[4:5], 0x5c
	s_load_dword s7, s[4:5], 0x50
	s_add_u32 s13, s4, 0x50
	s_addc_u32 s14, s5, 0
	v_mov_b32_e32 v4, 0
	s_waitcnt lgkmcnt(0)
	s_lshr_b32 s15, s12, 16
	s_cmp_lt_u32 s6, s7
	s_cselect_b32 s12, 12, 18
	s_add_u32 s12, s13, s12
	s_addc_u32 s13, s14, 0
	global_load_ushort v6, v4, s[12:13]
	s_lshl_b32 s12, -1, s49
	s_waitcnt vmcnt(1)
	v_lshrrev_b32_sdwa v16, s48, v9 dst_sel:DWORD dst_unused:UNUSED_PAD src0_sel:DWORD src1_sel:WORD_0
	s_not_b32 s33, s12
	v_and_b32_e32 v16, s33, v16
	v_and_b32_e32 v18, 1, v16
	v_bfe_u32 v5, v0, 10, 10
	v_bfe_u32 v7, v0, 20, 10
	v_add_co_u32_e64 v19, s[12:13], -1, v18
	v_mad_u32_u24 v7, v7, s15, v5
	v_lshlrev_b32_e32 v5, 30, v16
	v_addc_co_u32_e64 v20, s[12:13], 0, -1, s[12:13]
	v_cmp_ne_u32_e64 s[12:13], 0, v18
	v_cmp_gt_i64_e64 s[14:15], 0, v[4:5]
	v_not_b32_e32 v18, v5
	v_lshlrev_b32_e32 v5, 29, v16
	v_xor_b32_e32 v20, s13, v20
	v_xor_b32_e32 v19, s12, v19
	v_ashrrev_i32_e32 v18, 31, v18
	v_cmp_gt_i64_e64 s[12:13], 0, v[4:5]
	v_not_b32_e32 v21, v5
	v_lshlrev_b32_e32 v5, 28, v16
	v_and_b32_e32 v20, exec_hi, v20
	v_and_b32_e32 v19, exec_lo, v19
	v_xor_b32_e32 v22, s15, v18
	v_xor_b32_e32 v18, s14, v18
	v_ashrrev_i32_e32 v21, 31, v21
	v_cmp_gt_i64_e64 s[14:15], 0, v[4:5]
	v_not_b32_e32 v23, v5
	v_lshlrev_b32_e32 v5, 27, v16
	v_and_b32_e32 v20, v20, v22
	v_and_b32_e32 v18, v19, v18
	v_xor_b32_e32 v19, s13, v21
	v_xor_b32_e32 v21, s12, v21
	v_ashrrev_i32_e32 v22, 31, v23
	v_cmp_gt_i64_e64 s[12:13], 0, v[4:5]
	v_not_b32_e32 v23, v5
	v_lshlrev_b32_e32 v5, 26, v16
	v_and_b32_e32 v19, v20, v19
	v_and_b32_e32 v18, v18, v21
	;; [unrolled: 8-line block ×3, first 2 shown]
	v_xor_b32_e32 v20, s13, v22
	v_xor_b32_e32 v21, s12, v22
	v_ashrrev_i32_e32 v22, 31, v23
	v_cmp_gt_i64_e64 s[12:13], 0, v[4:5]
	v_not_b32_e32 v23, v5
	v_lshlrev_b32_e32 v5, 24, v16
	v_mul_u32_u24_e32 v17, 17, v16
	v_and_b32_e32 v16, v19, v20
	v_and_b32_e32 v18, v18, v21
	v_xor_b32_e32 v19, s15, v22
	v_xor_b32_e32 v20, s14, v22
	v_ashrrev_i32_e32 v21, 31, v23
	v_cmp_gt_i64_e64 s[14:15], 0, v[4:5]
	v_not_b32_e32 v5, v5
	v_and_b32_e32 v16, v16, v19
	v_and_b32_e32 v18, v18, v20
	v_xor_b32_e32 v19, s13, v21
	v_xor_b32_e32 v20, s12, v21
	v_ashrrev_i32_e32 v5, 31, v5
	v_and_b32_e32 v16, v16, v19
	v_and_b32_e32 v19, v18, v20
	v_mul_u32_u24_e32 v15, 5, v2
	v_lshlrev_b32_e32 v15, 2, v15
	ds_write2_b32 v15, v4, v4 offset0:16 offset1:17
	ds_write2_b32 v15, v4, v4 offset0:18 offset1:19
	ds_write_b32 v15, v4 offset:80
	s_waitcnt lgkmcnt(0)
	s_barrier
	s_waitcnt lgkmcnt(0)
	; wave barrier
	s_waitcnt vmcnt(0)
	v_mad_u64_u32 v[6:7], s[12:13], v7, v6, v[2:3]
	v_lshrrev_b32_e32 v24, 6, v6
	v_xor_b32_e32 v6, s15, v5
	v_xor_b32_e32 v5, s14, v5
	v_and_b32_e32 v7, v16, v6
	v_and_b32_e32 v6, v19, v5
	v_mbcnt_lo_u32_b32 v5, v6, 0
	v_mbcnt_hi_u32_b32 v16, v7, v5
	v_cmp_eq_u32_e64 s[12:13], 0, v16
	v_cmp_ne_u64_e64 s[14:15], 0, v[6:7]
	v_add_lshl_u32 v18, v24, v17, 2
	s_and_b64 s[14:15], s[14:15], s[12:13]
	s_and_saveexec_b64 s[12:13], s[14:15]
	s_cbranch_execz .LBB24_15
; %bb.14:
	v_bcnt_u32_b32 v5, v6, 0
	v_bcnt_u32_b32 v5, v7, v5
	ds_write_b32 v18, v5 offset:64
.LBB24_15:
	s_or_b64 exec, exec, s[12:13]
	v_lshrrev_b32_sdwa v5, s48, v8 dst_sel:DWORD dst_unused:UNUSED_PAD src0_sel:DWORD src1_sel:WORD_0
	v_and_b32_e32 v6, s33, v5
	v_mul_u32_u24_e32 v5, 17, v6
	v_add_lshl_u32 v19, v24, v5, 2
	v_and_b32_e32 v5, 1, v6
	v_add_co_u32_e64 v7, s[12:13], -1, v5
	v_addc_co_u32_e64 v20, s[12:13], 0, -1, s[12:13]
	v_cmp_ne_u32_e64 s[12:13], 0, v5
	v_xor_b32_e32 v5, s13, v20
	v_and_b32_e32 v20, exec_hi, v5
	v_lshlrev_b32_e32 v5, 30, v6
	v_xor_b32_e32 v7, s12, v7
	v_cmp_gt_i64_e64 s[12:13], 0, v[4:5]
	v_not_b32_e32 v5, v5
	v_ashrrev_i32_e32 v5, 31, v5
	v_and_b32_e32 v7, exec_lo, v7
	v_xor_b32_e32 v21, s13, v5
	v_xor_b32_e32 v5, s12, v5
	v_and_b32_e32 v7, v7, v5
	v_lshlrev_b32_e32 v5, 29, v6
	v_cmp_gt_i64_e64 s[12:13], 0, v[4:5]
	v_not_b32_e32 v5, v5
	v_ashrrev_i32_e32 v5, 31, v5
	v_and_b32_e32 v20, v20, v21
	v_xor_b32_e32 v21, s13, v5
	v_xor_b32_e32 v5, s12, v5
	v_and_b32_e32 v7, v7, v5
	v_lshlrev_b32_e32 v5, 28, v6
	v_cmp_gt_i64_e64 s[12:13], 0, v[4:5]
	v_not_b32_e32 v5, v5
	v_ashrrev_i32_e32 v5, 31, v5
	v_and_b32_e32 v20, v20, v21
	;; [unrolled: 8-line block ×5, first 2 shown]
	v_xor_b32_e32 v21, s13, v5
	v_xor_b32_e32 v5, s12, v5
	v_and_b32_e32 v7, v7, v5
	v_lshlrev_b32_e32 v5, 24, v6
	v_cmp_gt_i64_e64 s[12:13], 0, v[4:5]
	v_not_b32_e32 v4, v5
	v_ashrrev_i32_e32 v4, 31, v4
	v_xor_b32_e32 v5, s13, v4
	v_xor_b32_e32 v4, s12, v4
	; wave barrier
	ds_read_b32 v17, v19 offset:64
	v_and_b32_e32 v20, v20, v21
	v_and_b32_e32 v4, v7, v4
	;; [unrolled: 1-line block ×3, first 2 shown]
	v_mbcnt_lo_u32_b32 v6, v4, 0
	v_mbcnt_hi_u32_b32 v21, v5, v6
	v_cmp_eq_u32_e64 s[12:13], 0, v21
	v_cmp_ne_u64_e64 s[14:15], 0, v[4:5]
	s_and_b64 s[14:15], s[14:15], s[12:13]
	; wave barrier
	s_and_saveexec_b64 s[12:13], s[14:15]
	s_cbranch_execz .LBB24_17
; %bb.16:
	v_bcnt_u32_b32 v4, v4, 0
	v_bcnt_u32_b32 v4, v5, v4
	s_waitcnt lgkmcnt(0)
	v_add_u32_e32 v4, v17, v4
	ds_write_b32 v19, v4 offset:64
.LBB24_17:
	s_or_b64 exec, exec, s[12:13]
	v_lshrrev_b32_sdwa v4, s48, v11 dst_sel:DWORD dst_unused:UNUSED_PAD src0_sel:DWORD src1_sel:WORD_0
	v_and_b32_e32 v6, s33, v4
	v_and_b32_e32 v5, 1, v6
	v_add_co_u32_e64 v7, s[12:13], -1, v5
	v_addc_co_u32_e64 v23, s[12:13], 0, -1, s[12:13]
	v_cmp_ne_u32_e64 s[12:13], 0, v5
	v_mul_u32_u24_e32 v4, 17, v6
	v_xor_b32_e32 v5, s13, v23
	v_add_lshl_u32 v20, v24, v4, 2
	v_mov_b32_e32 v4, 0
	v_and_b32_e32 v23, exec_hi, v5
	v_lshlrev_b32_e32 v5, 30, v6
	v_xor_b32_e32 v7, s12, v7
	v_cmp_gt_i64_e64 s[12:13], 0, v[4:5]
	v_not_b32_e32 v5, v5
	v_ashrrev_i32_e32 v5, 31, v5
	v_and_b32_e32 v7, exec_lo, v7
	v_xor_b32_e32 v25, s13, v5
	v_xor_b32_e32 v5, s12, v5
	v_and_b32_e32 v7, v7, v5
	v_lshlrev_b32_e32 v5, 29, v6
	v_cmp_gt_i64_e64 s[12:13], 0, v[4:5]
	v_not_b32_e32 v5, v5
	v_ashrrev_i32_e32 v5, 31, v5
	v_and_b32_e32 v23, v23, v25
	v_xor_b32_e32 v25, s13, v5
	v_xor_b32_e32 v5, s12, v5
	v_and_b32_e32 v7, v7, v5
	v_lshlrev_b32_e32 v5, 28, v6
	v_cmp_gt_i64_e64 s[12:13], 0, v[4:5]
	v_not_b32_e32 v5, v5
	v_ashrrev_i32_e32 v5, 31, v5
	v_and_b32_e32 v23, v23, v25
	;; [unrolled: 8-line block ×5, first 2 shown]
	v_xor_b32_e32 v25, s13, v5
	v_xor_b32_e32 v5, s12, v5
	v_and_b32_e32 v23, v23, v25
	v_and_b32_e32 v25, v7, v5
	v_lshlrev_b32_e32 v5, 24, v6
	v_cmp_gt_i64_e64 s[12:13], 0, v[4:5]
	v_not_b32_e32 v5, v5
	v_ashrrev_i32_e32 v5, 31, v5
	v_xor_b32_e32 v6, s13, v5
	v_xor_b32_e32 v5, s12, v5
	; wave barrier
	ds_read_b32 v22, v20 offset:64
	v_and_b32_e32 v7, v23, v6
	v_and_b32_e32 v6, v25, v5
	v_mbcnt_lo_u32_b32 v5, v6, 0
	v_mbcnt_hi_u32_b32 v23, v7, v5
	v_cmp_eq_u32_e64 s[12:13], 0, v23
	v_cmp_ne_u64_e64 s[14:15], 0, v[6:7]
	s_and_b64 s[14:15], s[14:15], s[12:13]
	; wave barrier
	s_and_saveexec_b64 s[12:13], s[14:15]
	s_cbranch_execz .LBB24_19
; %bb.18:
	v_bcnt_u32_b32 v5, v6, 0
	v_bcnt_u32_b32 v5, v7, v5
	s_waitcnt lgkmcnt(0)
	v_add_u32_e32 v5, v22, v5
	ds_write_b32 v20, v5 offset:64
.LBB24_19:
	s_or_b64 exec, exec, s[12:13]
	v_lshrrev_b32_sdwa v5, s48, v10 dst_sel:DWORD dst_unused:UNUSED_PAD src0_sel:DWORD src1_sel:WORD_0
	v_and_b32_e32 v6, s33, v5
	v_mul_u32_u24_e32 v5, 17, v6
	v_add_lshl_u32 v25, v24, v5, 2
	v_and_b32_e32 v5, 1, v6
	v_add_co_u32_e64 v7, s[12:13], -1, v5
	v_addc_co_u32_e64 v26, s[12:13], 0, -1, s[12:13]
	v_cmp_ne_u32_e64 s[12:13], 0, v5
	v_xor_b32_e32 v5, s13, v26
	v_and_b32_e32 v26, exec_hi, v5
	v_lshlrev_b32_e32 v5, 30, v6
	v_xor_b32_e32 v7, s12, v7
	v_cmp_gt_i64_e64 s[12:13], 0, v[4:5]
	v_not_b32_e32 v5, v5
	v_ashrrev_i32_e32 v5, 31, v5
	v_and_b32_e32 v7, exec_lo, v7
	v_xor_b32_e32 v28, s13, v5
	v_xor_b32_e32 v5, s12, v5
	v_and_b32_e32 v7, v7, v5
	v_lshlrev_b32_e32 v5, 29, v6
	v_cmp_gt_i64_e64 s[12:13], 0, v[4:5]
	v_not_b32_e32 v5, v5
	v_ashrrev_i32_e32 v5, 31, v5
	v_and_b32_e32 v26, v26, v28
	v_xor_b32_e32 v28, s13, v5
	v_xor_b32_e32 v5, s12, v5
	v_and_b32_e32 v7, v7, v5
	v_lshlrev_b32_e32 v5, 28, v6
	v_cmp_gt_i64_e64 s[12:13], 0, v[4:5]
	v_not_b32_e32 v5, v5
	v_ashrrev_i32_e32 v5, 31, v5
	v_and_b32_e32 v26, v26, v28
	;; [unrolled: 8-line block ×5, first 2 shown]
	v_xor_b32_e32 v28, s13, v5
	v_xor_b32_e32 v5, s12, v5
	v_and_b32_e32 v7, v7, v5
	v_lshlrev_b32_e32 v5, 24, v6
	v_cmp_gt_i64_e64 s[12:13], 0, v[4:5]
	v_not_b32_e32 v4, v5
	v_ashrrev_i32_e32 v4, 31, v4
	v_xor_b32_e32 v5, s13, v4
	v_xor_b32_e32 v4, s12, v4
	; wave barrier
	ds_read_b32 v27, v25 offset:64
	v_and_b32_e32 v26, v26, v28
	v_and_b32_e32 v4, v7, v4
	v_and_b32_e32 v5, v26, v5
	v_mbcnt_lo_u32_b32 v6, v4, 0
	v_mbcnt_hi_u32_b32 v28, v5, v6
	v_cmp_eq_u32_e64 s[12:13], 0, v28
	v_cmp_ne_u64_e64 s[14:15], 0, v[4:5]
	s_and_b64 s[14:15], s[14:15], s[12:13]
	; wave barrier
	s_and_saveexec_b64 s[12:13], s[14:15]
	s_cbranch_execz .LBB24_21
; %bb.20:
	v_bcnt_u32_b32 v4, v4, 0
	v_bcnt_u32_b32 v4, v5, v4
	s_waitcnt lgkmcnt(0)
	v_add_u32_e32 v4, v27, v4
	ds_write_b32 v25, v4 offset:64
.LBB24_21:
	s_or_b64 exec, exec, s[12:13]
	v_lshrrev_b32_sdwa v4, s48, v14 dst_sel:DWORD dst_unused:UNUSED_PAD src0_sel:DWORD src1_sel:WORD_0
	v_and_b32_e32 v6, s33, v4
	v_and_b32_e32 v5, 1, v6
	v_add_co_u32_e64 v7, s[12:13], -1, v5
	v_addc_co_u32_e64 v30, s[12:13], 0, -1, s[12:13]
	v_cmp_ne_u32_e64 s[12:13], 0, v5
	v_mul_u32_u24_e32 v4, 17, v6
	v_xor_b32_e32 v5, s13, v30
	v_add_lshl_u32 v26, v24, v4, 2
	v_mov_b32_e32 v4, 0
	v_and_b32_e32 v30, exec_hi, v5
	v_lshlrev_b32_e32 v5, 30, v6
	v_xor_b32_e32 v7, s12, v7
	v_cmp_gt_i64_e64 s[12:13], 0, v[4:5]
	v_not_b32_e32 v5, v5
	v_ashrrev_i32_e32 v5, 31, v5
	v_and_b32_e32 v7, exec_lo, v7
	v_xor_b32_e32 v31, s13, v5
	v_xor_b32_e32 v5, s12, v5
	v_and_b32_e32 v7, v7, v5
	v_lshlrev_b32_e32 v5, 29, v6
	v_cmp_gt_i64_e64 s[12:13], 0, v[4:5]
	v_not_b32_e32 v5, v5
	v_ashrrev_i32_e32 v5, 31, v5
	v_and_b32_e32 v30, v30, v31
	v_xor_b32_e32 v31, s13, v5
	v_xor_b32_e32 v5, s12, v5
	v_and_b32_e32 v7, v7, v5
	v_lshlrev_b32_e32 v5, 28, v6
	v_cmp_gt_i64_e64 s[12:13], 0, v[4:5]
	v_not_b32_e32 v5, v5
	v_ashrrev_i32_e32 v5, 31, v5
	v_and_b32_e32 v30, v30, v31
	;; [unrolled: 8-line block ×5, first 2 shown]
	v_xor_b32_e32 v31, s13, v5
	v_xor_b32_e32 v5, s12, v5
	v_and_b32_e32 v30, v30, v31
	v_and_b32_e32 v31, v7, v5
	v_lshlrev_b32_e32 v5, 24, v6
	v_cmp_gt_i64_e64 s[12:13], 0, v[4:5]
	v_not_b32_e32 v5, v5
	v_ashrrev_i32_e32 v5, 31, v5
	v_xor_b32_e32 v6, s13, v5
	v_xor_b32_e32 v5, s12, v5
	; wave barrier
	ds_read_b32 v29, v26 offset:64
	v_and_b32_e32 v7, v30, v6
	v_and_b32_e32 v6, v31, v5
	v_mbcnt_lo_u32_b32 v5, v6, 0
	v_mbcnt_hi_u32_b32 v30, v7, v5
	v_cmp_eq_u32_e64 s[12:13], 0, v30
	v_cmp_ne_u64_e64 s[14:15], 0, v[6:7]
	s_and_b64 s[14:15], s[14:15], s[12:13]
	; wave barrier
	s_and_saveexec_b64 s[12:13], s[14:15]
	s_cbranch_execz .LBB24_23
; %bb.22:
	v_bcnt_u32_b32 v5, v6, 0
	v_bcnt_u32_b32 v5, v7, v5
	s_waitcnt lgkmcnt(0)
	v_add_u32_e32 v5, v29, v5
	ds_write_b32 v26, v5 offset:64
.LBB24_23:
	s_or_b64 exec, exec, s[12:13]
	v_lshrrev_b32_sdwa v5, s48, v13 dst_sel:DWORD dst_unused:UNUSED_PAD src0_sel:DWORD src1_sel:WORD_0
	v_and_b32_e32 v6, s33, v5
	v_mul_u32_u24_e32 v5, 17, v6
	v_add_lshl_u32 v24, v24, v5, 2
	v_and_b32_e32 v5, 1, v6
	v_add_co_u32_e64 v7, s[12:13], -1, v5
	v_addc_co_u32_e64 v33, s[12:13], 0, -1, s[12:13]
	v_cmp_ne_u32_e64 s[12:13], 0, v5
	v_xor_b32_e32 v5, s13, v33
	v_and_b32_e32 v33, exec_hi, v5
	v_lshlrev_b32_e32 v5, 30, v6
	v_xor_b32_e32 v7, s12, v7
	v_cmp_gt_i64_e64 s[12:13], 0, v[4:5]
	v_not_b32_e32 v5, v5
	v_ashrrev_i32_e32 v5, 31, v5
	v_and_b32_e32 v7, exec_lo, v7
	v_xor_b32_e32 v34, s13, v5
	v_xor_b32_e32 v5, s12, v5
	v_and_b32_e32 v7, v7, v5
	v_lshlrev_b32_e32 v5, 29, v6
	v_cmp_gt_i64_e64 s[12:13], 0, v[4:5]
	v_not_b32_e32 v5, v5
	v_ashrrev_i32_e32 v5, 31, v5
	v_and_b32_e32 v33, v33, v34
	v_xor_b32_e32 v34, s13, v5
	v_xor_b32_e32 v5, s12, v5
	v_and_b32_e32 v7, v7, v5
	v_lshlrev_b32_e32 v5, 28, v6
	v_cmp_gt_i64_e64 s[12:13], 0, v[4:5]
	v_not_b32_e32 v5, v5
	v_ashrrev_i32_e32 v5, 31, v5
	v_and_b32_e32 v33, v33, v34
	;; [unrolled: 8-line block ×5, first 2 shown]
	v_xor_b32_e32 v34, s13, v5
	v_xor_b32_e32 v5, s12, v5
	v_and_b32_e32 v7, v7, v5
	v_lshlrev_b32_e32 v5, 24, v6
	v_cmp_gt_i64_e64 s[12:13], 0, v[4:5]
	v_not_b32_e32 v4, v5
	v_ashrrev_i32_e32 v4, 31, v4
	v_xor_b32_e32 v5, s13, v4
	v_xor_b32_e32 v4, s12, v4
	; wave barrier
	ds_read_b32 v31, v24 offset:64
	v_and_b32_e32 v33, v33, v34
	v_and_b32_e32 v4, v7, v4
	;; [unrolled: 1-line block ×3, first 2 shown]
	v_mbcnt_lo_u32_b32 v6, v4, 0
	v_mbcnt_hi_u32_b32 v33, v5, v6
	v_cmp_eq_u32_e64 s[12:13], 0, v33
	v_cmp_ne_u64_e64 s[14:15], 0, v[4:5]
	v_add_u32_e32 v32, 64, v15
	s_and_b64 s[14:15], s[14:15], s[12:13]
	; wave barrier
	s_and_saveexec_b64 s[12:13], s[14:15]
	s_cbranch_execz .LBB24_25
; %bb.24:
	v_bcnt_u32_b32 v4, v4, 0
	v_bcnt_u32_b32 v4, v5, v4
	s_waitcnt lgkmcnt(0)
	v_add_u32_e32 v4, v31, v4
	ds_write_b32 v24, v4 offset:64
.LBB24_25:
	s_or_b64 exec, exec, s[12:13]
	; wave barrier
	s_waitcnt lgkmcnt(0)
	s_barrier
	ds_read2_b32 v[6:7], v15 offset0:16 offset1:17
	ds_read2_b32 v[4:5], v32 offset0:2 offset1:3
	ds_read_b32 v34, v32 offset:16
	v_cmp_lt_u32_e64 s[20:21], 31, v12
	s_waitcnt lgkmcnt(1)
	v_add3_u32 v35, v7, v6, v4
	s_waitcnt lgkmcnt(0)
	v_add3_u32 v34, v35, v5, v34
	v_and_b32_e32 v35, 15, v12
	v_cmp_eq_u32_e64 s[12:13], 0, v35
	v_mov_b32_dpp v36, v34 row_shr:1 row_mask:0xf bank_mask:0xf
	v_cndmask_b32_e64 v36, v36, 0, s[12:13]
	v_add_u32_e32 v34, v36, v34
	v_cmp_lt_u32_e64 s[14:15], 1, v35
	v_cmp_lt_u32_e64 s[16:17], 3, v35
	v_mov_b32_dpp v36, v34 row_shr:2 row_mask:0xf bank_mask:0xf
	v_cndmask_b32_e64 v36, 0, v36, s[14:15]
	v_add_u32_e32 v34, v34, v36
	v_cmp_lt_u32_e64 s[18:19], 7, v35
	s_nop 0
	v_mov_b32_dpp v36, v34 row_shr:4 row_mask:0xf bank_mask:0xf
	v_cndmask_b32_e64 v36, 0, v36, s[16:17]
	v_add_u32_e32 v34, v34, v36
	s_nop 1
	v_mov_b32_dpp v36, v34 row_shr:8 row_mask:0xf bank_mask:0xf
	v_cndmask_b32_e64 v35, 0, v36, s[18:19]
	v_add_u32_e32 v34, v34, v35
	v_bfe_i32 v36, v12, 4, 1
	s_nop 0
	v_mov_b32_dpp v35, v34 row_bcast:15 row_mask:0xf bank_mask:0xf
	v_and_b32_e32 v35, v36, v35
	v_add_u32_e32 v34, v34, v35
	v_and_b32_e32 v36, 63, v2
	s_nop 0
	v_mov_b32_dpp v35, v34 row_bcast:31 row_mask:0xf bank_mask:0xf
	v_cndmask_b32_e64 v35, 0, v35, s[20:21]
	v_add_u32_e32 v34, v34, v35
	v_lshrrev_b32_e32 v35, 6, v2
	v_cmp_eq_u32_e64 s[20:21], 63, v36
	s_and_saveexec_b64 s[22:23], s[20:21]
	s_cbranch_execz .LBB24_27
; %bb.26:
	v_lshlrev_b32_e32 v36, 2, v35
	ds_write_b32 v36, v34
.LBB24_27:
	s_or_b64 exec, exec, s[22:23]
	v_cmp_gt_u32_e64 s[20:21], 16, v2
	s_waitcnt lgkmcnt(0)
	s_barrier
	s_and_saveexec_b64 s[22:23], s[20:21]
	s_cbranch_execz .LBB24_29
; %bb.28:
	v_lshlrev_b32_e32 v36, 2, v2
	ds_read_b32 v37, v36
	s_waitcnt lgkmcnt(0)
	s_nop 0
	v_mov_b32_dpp v38, v37 row_shr:1 row_mask:0xf bank_mask:0xf
	v_cndmask_b32_e64 v38, v38, 0, s[12:13]
	v_add_u32_e32 v37, v38, v37
	s_nop 1
	v_mov_b32_dpp v38, v37 row_shr:2 row_mask:0xf bank_mask:0xf
	v_cndmask_b32_e64 v38, 0, v38, s[14:15]
	v_add_u32_e32 v37, v37, v38
	;; [unrolled: 4-line block ×4, first 2 shown]
	ds_write_b32 v36, v37
.LBB24_29:
	s_or_b64 exec, exec, s[22:23]
	v_cmp_lt_u32_e64 s[12:13], 63, v2
	v_mov_b32_e32 v36, 0
	s_waitcnt lgkmcnt(0)
	s_barrier
	s_and_saveexec_b64 s[14:15], s[12:13]
	s_cbranch_execz .LBB24_31
; %bb.30:
	v_lshl_add_u32 v35, v35, 2, -4
	ds_read_b32 v36, v35
.LBB24_31:
	s_or_b64 exec, exec, s[14:15]
	v_add_u32_e32 v35, -1, v12
	v_and_b32_e32 v37, 64, v12
	v_cmp_lt_i32_e64 s[12:13], v35, v37
	v_cndmask_b32_e64 v35, v35, v12, s[12:13]
	s_waitcnt lgkmcnt(0)
	v_add_u32_e32 v34, v36, v34
	v_lshlrev_b32_e32 v35, 2, v35
	ds_bpermute_b32 v34, v35, v34
	v_cmp_eq_u32_e64 s[12:13], 0, v12
	s_waitcnt lgkmcnt(0)
	v_cndmask_b32_e64 v34, v34, v36, s[12:13]
	v_cmp_ne_u32_e64 s[12:13], 0, v2
	v_cndmask_b32_e64 v34, 0, v34, s[12:13]
	v_add_u32_e32 v6, v34, v6
	v_add_u32_e32 v7, v6, v7
	;; [unrolled: 1-line block ×4, first 2 shown]
	ds_write2_b32 v15, v34, v6 offset0:16 offset1:17
	ds_write2_b32 v32, v7, v4 offset0:2 offset1:3
	ds_write_b32 v32, v5 offset:16
	s_waitcnt lgkmcnt(0)
	s_barrier
	ds_read_b32 v6, v18 offset:64
	ds_read_b32 v7, v19 offset:64
	;; [unrolled: 1-line block ×6, first 2 shown]
	s_movk_i32 s12, 0x100
	v_cmp_gt_u32_e64 s[12:13], s12, v2
	v_pk_mov_b32 v[4:5], 0, 0
                                        ; implicit-def: $vgpr20
	s_and_saveexec_b64 s[16:17], s[12:13]
	s_cbranch_execz .LBB24_35
; %bb.32:
	v_mul_u32_u24_e32 v4, 17, v2
	v_lshlrev_b32_e32 v20, 2, v4
	ds_read_b32 v4, v20 offset:64
	s_movk_i32 s14, 0xff
	v_cmp_ne_u32_e64 s[14:15], s14, v2
	v_mov_b32_e32 v5, 0x1800
	s_and_saveexec_b64 s[18:19], s[14:15]
	s_cbranch_execz .LBB24_34
; %bb.33:
	ds_read_b32 v5, v20 offset:132
.LBB24_34:
	s_or_b64 exec, exec, s[18:19]
	s_waitcnt lgkmcnt(0)
	v_sub_u32_e32 v20, v5, v4
	v_mov_b32_e32 v5, 0
.LBB24_35:
	s_or_b64 exec, exec, s[16:17]
	s_waitcnt lgkmcnt(5)
	v_add_u32_e32 v26, v6, v16
	s_waitcnt lgkmcnt(4)
	v_add3_u32 v25, v21, v17, v7
	v_lshlrev_b32_e32 v6, 1, v26
	s_waitcnt lgkmcnt(3)
	v_add3_u32 v24, v23, v22, v15
	s_waitcnt lgkmcnt(0)
	s_barrier
	ds_write_b16 v6, v9 offset:2048
	v_lshlrev_b32_e32 v6, 1, v25
	v_add3_u32 v23, v28, v27, v18
	ds_write_b16 v6, v8 offset:2048
	v_lshlrev_b32_e32 v6, 1, v24
	v_add3_u32 v22, v30, v29, v19
	;; [unrolled: 3-line block ×3, first 2 shown]
	ds_write_b16 v6, v10 offset:2048
	v_lshlrev_b32_e32 v6, 1, v22
	ds_write_b16 v6, v14 offset:2048
	v_lshlrev_b32_e32 v6, 1, v21
	ds_write_b16 v6, v13 offset:2048
	s_waitcnt lgkmcnt(0)
	s_barrier
	s_and_saveexec_b64 s[16:17], s[12:13]
	s_cbranch_execz .LBB24_45
; %bb.36:
	v_lshl_or_b32 v6, s6, 8, v2
	v_mov_b32_e32 v7, 0
	v_lshlrev_b64 v[8:9], 2, v[6:7]
	v_mov_b32_e32 v13, s35
	v_add_co_u32_e64 v8, s[14:15], s34, v8
	v_addc_co_u32_e64 v9, s[14:15], v13, v9, s[14:15]
	v_or_b32_e32 v6, 2.0, v20
	s_mov_b64 s[18:19], 0
	s_brev_b32 s24, 1
	s_mov_b32 s25, s6
	v_mov_b32_e32 v14, 0
	global_store_dword v[8:9], v6, off
                                        ; implicit-def: $sgpr14_sgpr15
	s_branch .LBB24_38
.LBB24_37:                              ;   in Loop: Header=BB24_38 Depth=1
	s_or_b64 exec, exec, s[20:21]
	v_and_b32_e32 v10, 0x3fffffff, v15
	v_add_u32_e32 v14, v10, v14
	v_cmp_eq_u32_e64 s[14:15], s24, v6
	s_and_b64 s[20:21], exec, s[14:15]
	s_or_b64 s[18:19], s[20:21], s[18:19]
	s_andn2_b64 exec, exec, s[18:19]
	s_cbranch_execz .LBB24_44
.LBB24_38:                              ; =>This Loop Header: Depth=1
                                        ;     Child Loop BB24_41 Depth 2
	s_or_b64 s[14:15], s[14:15], exec
	s_cmp_eq_u32 s25, 0
	s_cbranch_scc1 .LBB24_43
; %bb.39:                               ;   in Loop: Header=BB24_38 Depth=1
	s_add_i32 s25, s25, -1
	v_lshl_or_b32 v6, s25, 8, v2
	v_lshlrev_b64 v[10:11], 2, v[6:7]
	v_add_co_u32_e64 v10, s[14:15], s34, v10
	v_addc_co_u32_e64 v11, s[14:15], v13, v11, s[14:15]
	global_load_dword v15, v[10:11], off glc
	s_waitcnt vmcnt(0)
	v_and_b32_e32 v6, -2.0, v15
	v_cmp_eq_u32_e64 s[14:15], 0, v6
	s_and_saveexec_b64 s[20:21], s[14:15]
	s_cbranch_execz .LBB24_37
; %bb.40:                               ;   in Loop: Header=BB24_38 Depth=1
	s_mov_b64 s[22:23], 0
.LBB24_41:                              ;   Parent Loop BB24_38 Depth=1
                                        ; =>  This Inner Loop Header: Depth=2
	global_load_dword v15, v[10:11], off glc
	s_waitcnt vmcnt(0)
	v_and_b32_e32 v6, -2.0, v15
	v_cmp_ne_u32_e64 s[14:15], 0, v6
	s_or_b64 s[22:23], s[14:15], s[22:23]
	s_andn2_b64 exec, exec, s[22:23]
	s_cbranch_execnz .LBB24_41
; %bb.42:                               ;   in Loop: Header=BB24_38 Depth=1
	s_or_b64 exec, exec, s[22:23]
	s_branch .LBB24_37
.LBB24_43:                              ;   in Loop: Header=BB24_38 Depth=1
                                        ; implicit-def: $sgpr25
	s_and_b64 s[20:21], exec, s[14:15]
	s_or_b64 s[18:19], s[20:21], s[18:19]
	s_andn2_b64 exec, exec, s[18:19]
	s_cbranch_execnz .LBB24_38
.LBB24_44:
	s_or_b64 exec, exec, s[18:19]
	v_add_u32_e32 v6, v14, v20
	v_or_b32_e32 v6, 0x80000000, v6
	global_store_dword v[8:9], v6, off
	v_lshlrev_b32_e32 v8, 3, v2
	global_load_dwordx2 v[6:7], v8, s[44:45]
	v_sub_co_u32_e64 v9, s[14:15], v14, v4
	v_subb_co_u32_e64 v10, s[14:15], 0, v5, s[14:15]
	s_waitcnt vmcnt(0)
	v_add_co_u32_e64 v6, s[14:15], v9, v6
	v_addc_co_u32_e64 v7, s[14:15], v10, v7, s[14:15]
	ds_write_b64 v8, v[6:7]
.LBB24_45:
	s_or_b64 exec, exec, s[16:17]
	v_cmp_gt_u32_e64 s[14:15], s50, v2
	v_lshlrev_b32_e32 v32, 1, v2
	s_waitcnt lgkmcnt(0)
	s_barrier
	s_and_saveexec_b64 s[18:19], s[14:15]
	s_cbranch_execz .LBB24_47
; %bb.46:
	ds_read_u16 v8, v32 offset:2048
	v_mov_b32_e32 v9, s39
	s_waitcnt lgkmcnt(0)
	v_lshrrev_b32_sdwa v6, s48, v8 dst_sel:DWORD dst_unused:UNUSED_PAD src0_sel:DWORD src1_sel:WORD_0
	v_and_b32_e32 v6, s33, v6
	v_lshlrev_b32_e32 v6, 3, v6
	ds_read_b64 v[6:7], v6
	s_waitcnt lgkmcnt(0)
	v_lshlrev_b64 v[6:7], 1, v[6:7]
	v_add_co_u32_e64 v6, s[16:17], s38, v6
	v_addc_co_u32_e64 v7, s[16:17], v9, v7, s[16:17]
	v_add_co_u32_e64 v6, s[16:17], v6, v32
	v_addc_co_u32_e64 v7, s[16:17], 0, v7, s[16:17]
	global_store_short v[6:7], v8, off
.LBB24_47:
	s_or_b64 exec, exec, s[18:19]
	v_or_b32_e32 v27, 0x400, v2
	v_cmp_gt_u32_e64 s[16:17], s50, v27
	s_and_saveexec_b64 s[20:21], s[16:17]
	s_cbranch_execz .LBB24_49
; %bb.48:
	ds_read_u16 v8, v32 offset:4096
	v_mov_b32_e32 v9, s39
	s_waitcnt lgkmcnt(0)
	v_lshrrev_b32_sdwa v6, s48, v8 dst_sel:DWORD dst_unused:UNUSED_PAD src0_sel:DWORD src1_sel:WORD_0
	v_and_b32_e32 v6, s33, v6
	v_lshlrev_b32_e32 v6, 3, v6
	ds_read_b64 v[6:7], v6
	s_waitcnt lgkmcnt(0)
	v_lshlrev_b64 v[6:7], 1, v[6:7]
	v_add_co_u32_e64 v6, s[18:19], s38, v6
	v_addc_co_u32_e64 v7, s[18:19], v9, v7, s[18:19]
	v_add_co_u32_e64 v6, s[18:19], v6, v32
	v_addc_co_u32_e64 v7, s[18:19], 0, v7, s[18:19]
	global_store_short v[6:7], v8, off offset:2048
.LBB24_49:
	s_or_b64 exec, exec, s[20:21]
	v_or_b32_e32 v28, 0x800, v2
	v_cmp_gt_u32_e64 s[18:19], s50, v28
	s_and_saveexec_b64 s[22:23], s[18:19]
	s_cbranch_execz .LBB24_51
; %bb.50:
	ds_read_u16 v8, v32 offset:6144
	v_mov_b32_e32 v9, s39
	v_lshlrev_b32_e32 v10, 1, v28
	s_waitcnt lgkmcnt(0)
	v_lshrrev_b32_sdwa v6, s48, v8 dst_sel:DWORD dst_unused:UNUSED_PAD src0_sel:DWORD src1_sel:WORD_0
	v_and_b32_e32 v6, s33, v6
	v_lshlrev_b32_e32 v6, 3, v6
	ds_read_b64 v[6:7], v6
	s_waitcnt lgkmcnt(0)
	v_lshlrev_b64 v[6:7], 1, v[6:7]
	v_add_co_u32_e64 v6, s[20:21], s38, v6
	v_addc_co_u32_e64 v7, s[20:21], v9, v7, s[20:21]
	v_add_co_u32_e64 v6, s[20:21], v6, v10
	v_addc_co_u32_e64 v7, s[20:21], 0, v7, s[20:21]
	global_store_short v[6:7], v8, off
.LBB24_51:
	s_or_b64 exec, exec, s[22:23]
	v_or_b32_e32 v29, 0xc00, v2
	v_cmp_gt_u32_e64 s[20:21], s50, v29
	s_and_saveexec_b64 s[24:25], s[20:21]
	s_cbranch_execz .LBB24_53
; %bb.52:
	ds_read_u16 v8, v32 offset:8192
	v_mov_b32_e32 v9, s39
	v_lshlrev_b32_e32 v10, 1, v29
	s_waitcnt lgkmcnt(0)
	v_lshrrev_b32_sdwa v6, s48, v8 dst_sel:DWORD dst_unused:UNUSED_PAD src0_sel:DWORD src1_sel:WORD_0
	v_and_b32_e32 v6, s33, v6
	v_lshlrev_b32_e32 v6, 3, v6
	ds_read_b64 v[6:7], v6
	s_waitcnt lgkmcnt(0)
	v_lshlrev_b64 v[6:7], 1, v[6:7]
	v_add_co_u32_e64 v6, s[22:23], s38, v6
	v_addc_co_u32_e64 v7, s[22:23], v9, v7, s[22:23]
	v_add_co_u32_e64 v6, s[22:23], v6, v10
	v_addc_co_u32_e64 v7, s[22:23], 0, v7, s[22:23]
	global_store_short v[6:7], v8, off
.LBB24_53:
	;; [unrolled: 22-line block ×4, first 2 shown]
	s_or_b64 exec, exec, s[50:51]
	s_lshl_b64 s[28:29], s[30:31], 3
	s_add_u32 s28, s40, s28
	s_addc_u32 s29, s41, s29
	v_lshlrev_b32_e32 v6, 3, v12
	v_mov_b32_e32 v7, s29
	v_add_co_u32_e64 v6, s[28:29], s28, v6
	v_addc_co_u32_e64 v7, s[28:29], 0, v7, s[28:29]
	v_lshlrev_b32_e32 v3, 3, v3
	v_add_co_u32_e64 v18, s[28:29], v6, v3
	v_addc_co_u32_e64 v19, s[28:29], 0, v7, s[28:29]
                                        ; implicit-def: $vgpr6_vgpr7
	s_and_saveexec_b64 s[28:29], vcc
	s_xor_b64 s[28:29], exec, s[28:29]
	s_cbranch_execnz .LBB24_127
; %bb.58:
	s_or_b64 exec, exec, s[28:29]
                                        ; implicit-def: $vgpr8_vgpr9
	s_and_saveexec_b64 s[28:29], s[0:1]
	s_cbranch_execnz .LBB24_128
.LBB24_59:
	s_or_b64 exec, exec, s[28:29]
                                        ; implicit-def: $vgpr10_vgpr11
	s_and_saveexec_b64 s[0:1], s[2:3]
	s_cbranch_execnz .LBB24_129
.LBB24_60:
	s_or_b64 exec, exec, s[0:1]
                                        ; implicit-def: $vgpr12_vgpr13
	s_and_saveexec_b64 s[0:1], s[26:27]
	s_cbranch_execnz .LBB24_130
.LBB24_61:
	s_or_b64 exec, exec, s[0:1]
                                        ; implicit-def: $vgpr14_vgpr15
	s_and_saveexec_b64 s[0:1], s[8:9]
	s_cbranch_execnz .LBB24_131
.LBB24_62:
	s_or_b64 exec, exec, s[0:1]
                                        ; implicit-def: $vgpr16_vgpr17
	s_and_saveexec_b64 s[0:1], s[10:11]
	s_cbranch_execz .LBB24_64
.LBB24_63:
	global_load_dwordx2 v[16:17], v[18:19], off offset:2560
.LBB24_64:
	s_or_b64 exec, exec, s[0:1]
	v_mov_b32_e32 v33, 0
	v_mov_b32_e32 v35, 0
	s_and_saveexec_b64 s[0:1], s[14:15]
	s_cbranch_execz .LBB24_66
; %bb.65:
	ds_read_u16 v3, v32 offset:2048
	s_waitcnt lgkmcnt(0)
	v_lshrrev_b32_e32 v3, s48, v3
	v_and_b32_e32 v35, s33, v3
.LBB24_66:
	s_or_b64 exec, exec, s[0:1]
	s_and_saveexec_b64 s[0:1], s[16:17]
	s_cbranch_execz .LBB24_68
; %bb.67:
	ds_read_u16 v3, v32 offset:4096
	s_waitcnt lgkmcnt(0)
	v_lshrrev_b32_e32 v3, s48, v3
	v_and_b32_e32 v33, s33, v3
.LBB24_68:
	s_or_b64 exec, exec, s[0:1]
	v_mov_b32_e32 v18, 0
	v_mov_b32_e32 v34, 0
	s_and_saveexec_b64 s[0:1], s[18:19]
	s_cbranch_execz .LBB24_70
; %bb.69:
	ds_read_u16 v3, v32 offset:6144
	s_waitcnt lgkmcnt(0)
	v_lshrrev_b32_e32 v3, s48, v3
	v_and_b32_e32 v34, s33, v3
.LBB24_70:
	s_or_b64 exec, exec, s[0:1]
	s_and_saveexec_b64 s[0:1], s[20:21]
	s_cbranch_execz .LBB24_72
; %bb.71:
	ds_read_u16 v3, v32 offset:8192
	s_waitcnt lgkmcnt(0)
	v_lshrrev_b32_e32 v3, s48, v3
	v_and_b32_e32 v18, s33, v3
.LBB24_72:
	;; [unrolled: 20-line block ×3, first 2 shown]
	s_or_b64 exec, exec, s[0:1]
	v_lshlrev_b32_e32 v26, 3, v26
	s_barrier
	s_waitcnt vmcnt(0)
	ds_write_b64 v26, v[6:7] offset:2048
	v_lshlrev_b32_e32 v6, 3, v25
	ds_write_b64 v6, v[8:9] offset:2048
	v_lshlrev_b32_e32 v6, 3, v24
	ds_write_b64 v6, v[10:11] offset:2048
	v_lshlrev_b32_e32 v6, 3, v23
	ds_write_b64 v6, v[12:13] offset:2048
	v_lshlrev_b32_e32 v6, 3, v22
	ds_write_b64 v6, v[14:15] offset:2048
	v_lshlrev_b32_e32 v6, 3, v21
	ds_write_b64 v6, v[16:17] offset:2048
	v_lshlrev_b32_e32 v6, 3, v2
	s_waitcnt lgkmcnt(0)
	s_barrier
	s_and_saveexec_b64 s[0:1], s[14:15]
	s_cbranch_execnz .LBB24_132
; %bb.77:
	s_or_b64 exec, exec, s[0:1]
	s_and_saveexec_b64 s[0:1], s[16:17]
	s_cbranch_execnz .LBB24_133
.LBB24_78:
	s_or_b64 exec, exec, s[0:1]
	s_and_saveexec_b64 s[0:1], s[18:19]
	s_cbranch_execnz .LBB24_134
.LBB24_79:
	s_or_b64 exec, exec, s[0:1]
	s_and_saveexec_b64 s[0:1], s[20:21]
	s_cbranch_execnz .LBB24_135
.LBB24_80:
	s_or_b64 exec, exec, s[0:1]
	s_and_saveexec_b64 s[0:1], s[22:23]
	s_cbranch_execnz .LBB24_136
.LBB24_81:
	s_or_b64 exec, exec, s[0:1]
	s_and_saveexec_b64 s[0:1], s[24:25]
	s_cbranch_execz .LBB24_83
.LBB24_82:
	v_lshlrev_b32_e32 v3, 3, v3
	ds_read_b64 v[8:9], v3
	ds_read_b64 v[6:7], v6 offset:43008
	v_mov_b32_e32 v3, s43
	s_waitcnt lgkmcnt(1)
	v_lshlrev_b64 v[8:9], 3, v[8:9]
	v_add_co_u32_e32 v8, vcc, s42, v8
	v_addc_co_u32_e32 v3, vcc, v3, v9, vcc
	v_lshlrev_b32_e32 v9, 3, v31
	v_add_co_u32_e32 v8, vcc, v8, v9
	v_addc_co_u32_e32 v9, vcc, 0, v3, vcc
	s_waitcnt lgkmcnt(0)
	global_store_dwordx2 v[8:9], v[6:7], off
.LBB24_83:
	s_or_b64 exec, exec, s[0:1]
	s_add_i32 s7, s7, -1
	s_cmp_eq_u32 s6, s7
	s_cselect_b64 s[0:1], -1, 0
	s_and_b64 s[2:3], s[12:13], s[0:1]
	s_mov_b64 s[0:1], 0
	s_mov_b64 s[10:11], 0
                                        ; implicit-def: $vgpr6_vgpr7
	s_and_saveexec_b64 s[8:9], s[2:3]
	s_xor_b64 s[2:3], exec, s[8:9]
; %bb.84:
	v_add_co_u32_e32 v6, vcc, v4, v20
	s_mov_b64 s[10:11], exec
	v_mov_b32_e32 v3, 0
	v_addc_co_u32_e32 v7, vcc, 0, v5, vcc
; %bb.85:
	s_or_b64 exec, exec, s[2:3]
	s_and_b64 vcc, exec, s[0:1]
	s_cbranch_vccnz .LBB24_87
	s_branch .LBB24_124
.LBB24_86:
	s_mov_b64 s[10:11], 0
                                        ; implicit-def: $vgpr6_vgpr7
                                        ; implicit-def: $vgpr2_vgpr3
	s_cbranch_execz .LBB24_124
.LBB24_87:
	v_and_b32_e32 v2, 0x3ff, v0
	s_mov_b32 s31, 0
	s_lshl_b64 s[0:1], s[30:31], 1
	v_mbcnt_hi_u32_b32 v11, -1, v1
	v_and_b32_e32 v1, 0x3c0, v2
	s_add_u32 s0, s36, s0
	v_mul_u32_u24_e32 v10, 6, v1
	v_lshlrev_b32_e32 v1, 1, v11
	v_add_co_u32_e32 v1, vcc, s0, v1
	s_load_dword s7, s[4:5], 0x50
	s_load_dword s0, s[4:5], 0x5c
	s_addc_u32 s1, s37, s1
	v_mov_b32_e32 v3, s1
	s_add_u32 s1, s4, 0x50
	v_addc_co_u32_e32 v3, vcc, 0, v3, vcc
	v_lshlrev_b32_e32 v5, 1, v10
	s_addc_u32 s2, s5, 0
	s_waitcnt lgkmcnt(0)
	s_lshr_b32 s3, s0, 16
	v_add_co_u32_e32 v14, vcc, v1, v5
	s_cmp_lt_u32 s6, s7
	v_addc_co_u32_e32 v15, vcc, 0, v3, vcc
	s_cselect_b32 s0, 12, 18
	global_load_ushort v3, v[14:15], off
	s_add_u32 s0, s1, s0
	v_mov_b32_e32 v4, 0
	s_addc_u32 s1, s2, 0
	global_load_ushort v1, v4, s[0:1]
	v_mul_u32_u24_e32 v6, 5, v2
	v_lshlrev_b32_e32 v13, 2, v6
	ds_write2_b32 v13, v4, v4 offset0:16 offset1:17
	ds_write2_b32 v13, v4, v4 offset0:18 offset1:19
	ds_write_b32 v13, v4 offset:80
	global_load_ushort v12, v[14:15], off offset:128
	global_load_ushort v9, v[14:15], off offset:256
	;; [unrolled: 1-line block ×5, first 2 shown]
	v_bfe_u32 v5, v0, 10, 10
	v_bfe_u32 v0, v0, 20, 10
	s_lshl_b32 s0, -1, s49
	v_mad_u32_u24 v0, v0, s3, v5
	s_not_b32 s14, s0
	s_waitcnt lgkmcnt(0)
	s_barrier
	s_waitcnt lgkmcnt(0)
	; wave barrier
	s_waitcnt vmcnt(6)
	v_lshrrev_b32_sdwa v5, s48, v3 dst_sel:DWORD dst_unused:UNUSED_PAD src0_sel:DWORD src1_sel:WORD_0
	v_and_b32_e32 v15, s14, v5
	v_and_b32_e32 v16, 1, v15
	v_lshlrev_b32_e32 v5, 30, v15
	s_waitcnt vmcnt(5)
	v_mad_u64_u32 v[0:1], s[0:1], v0, v1, v[2:3]
	v_add_co_u32_e32 v1, vcc, -1, v16
	v_addc_co_u32_e64 v17, s[0:1], 0, -1, vcc
	v_cmp_ne_u32_e32 vcc, 0, v16
	v_cmp_gt_i64_e64 s[0:1], 0, v[4:5]
	v_not_b32_e32 v16, v5
	v_lshlrev_b32_e32 v5, 29, v15
	v_lshrrev_b32_e32 v21, 6, v0
	v_xor_b32_e32 v0, vcc_hi, v17
	v_xor_b32_e32 v1, vcc_lo, v1
	v_ashrrev_i32_e32 v16, 31, v16
	v_cmp_gt_i64_e32 vcc, 0, v[4:5]
	v_not_b32_e32 v17, v5
	v_lshlrev_b32_e32 v5, 28, v15
	v_and_b32_e32 v0, exec_hi, v0
	v_and_b32_e32 v1, exec_lo, v1
	v_xor_b32_e32 v18, s1, v16
	v_xor_b32_e32 v16, s0, v16
	v_ashrrev_i32_e32 v17, 31, v17
	v_cmp_gt_i64_e64 s[0:1], 0, v[4:5]
	v_not_b32_e32 v19, v5
	v_lshlrev_b32_e32 v5, 27, v15
	v_and_b32_e32 v0, v0, v18
	v_and_b32_e32 v1, v1, v16
	v_xor_b32_e32 v16, vcc_hi, v17
	v_xor_b32_e32 v17, vcc_lo, v17
	v_ashrrev_i32_e32 v18, 31, v19
	v_cmp_gt_i64_e32 vcc, 0, v[4:5]
	v_not_b32_e32 v5, v5
	v_and_b32_e32 v0, v0, v16
	v_and_b32_e32 v1, v1, v17
	v_xor_b32_e32 v16, s1, v18
	v_xor_b32_e32 v17, s0, v18
	v_ashrrev_i32_e32 v5, 31, v5
	v_and_b32_e32 v0, v0, v16
	v_and_b32_e32 v1, v1, v17
	v_xor_b32_e32 v16, vcc_hi, v5
	v_xor_b32_e32 v5, vcc_lo, v5
	v_and_b32_e32 v1, v1, v5
	v_lshlrev_b32_e32 v5, 26, v15
	v_cmp_gt_i64_e32 vcc, 0, v[4:5]
	v_not_b32_e32 v5, v5
	v_ashrrev_i32_e32 v5, 31, v5
	v_and_b32_e32 v0, v0, v16
	v_xor_b32_e32 v16, vcc_hi, v5
	v_xor_b32_e32 v5, vcc_lo, v5
	v_and_b32_e32 v1, v1, v5
	v_lshlrev_b32_e32 v5, 25, v15
	v_cmp_gt_i64_e32 vcc, 0, v[4:5]
	v_not_b32_e32 v5, v5
	v_ashrrev_i32_e32 v5, 31, v5
	v_and_b32_e32 v0, v0, v16
	v_xor_b32_e32 v16, vcc_hi, v5
	v_xor_b32_e32 v5, vcc_lo, v5
	v_and_b32_e32 v0, v0, v16
	v_and_b32_e32 v16, v1, v5
	v_lshlrev_b32_e32 v5, 24, v15
	v_not_b32_e32 v1, v5
	v_cmp_gt_i64_e32 vcc, 0, v[4:5]
	v_ashrrev_i32_e32 v1, 31, v1
	v_mul_u32_u24_e32 v14, 17, v15
	v_xor_b32_e32 v5, vcc_hi, v1
	v_xor_b32_e32 v15, vcc_lo, v1
	v_and_b32_e32 v1, v0, v5
	v_and_b32_e32 v0, v16, v15
	v_mbcnt_lo_u32_b32 v5, v0, 0
	v_mbcnt_hi_u32_b32 v15, v1, v5
	v_cmp_eq_u32_e32 vcc, 0, v15
	v_cmp_ne_u64_e64 s[0:1], 0, v[0:1]
	v_add_lshl_u32 v14, v21, v14, 2
	s_and_b64 s[2:3], s[0:1], vcc
	s_and_saveexec_b64 s[0:1], s[2:3]
	s_cbranch_execz .LBB24_89
; %bb.88:
	v_bcnt_u32_b32 v0, v0, 0
	v_bcnt_u32_b32 v0, v1, v0
	ds_write_b32 v14, v0 offset:64
.LBB24_89:
	s_or_b64 exec, exec, s[0:1]
	s_waitcnt vmcnt(4)
	v_lshrrev_b32_sdwa v0, s48, v12 dst_sel:DWORD dst_unused:UNUSED_PAD src0_sel:DWORD src1_sel:WORD_0
	v_and_b32_e32 v0, s14, v0
	v_mul_u32_u24_e32 v1, 17, v0
	v_add_lshl_u32 v17, v21, v1, 2
	v_and_b32_e32 v1, 1, v0
	v_add_co_u32_e32 v5, vcc, -1, v1
	v_addc_co_u32_e64 v18, s[0:1], 0, -1, vcc
	v_cmp_ne_u32_e32 vcc, 0, v1
	v_xor_b32_e32 v5, vcc_lo, v5
	v_xor_b32_e32 v1, vcc_hi, v18
	v_and_b32_e32 v18, exec_lo, v5
	v_lshlrev_b32_e32 v5, 30, v0
	v_cmp_gt_i64_e32 vcc, 0, v[4:5]
	v_not_b32_e32 v5, v5
	v_ashrrev_i32_e32 v5, 31, v5
	v_xor_b32_e32 v19, vcc_hi, v5
	v_xor_b32_e32 v5, vcc_lo, v5
	v_and_b32_e32 v18, v18, v5
	v_lshlrev_b32_e32 v5, 29, v0
	v_cmp_gt_i64_e32 vcc, 0, v[4:5]
	v_not_b32_e32 v5, v5
	v_and_b32_e32 v1, exec_hi, v1
	v_ashrrev_i32_e32 v5, 31, v5
	v_and_b32_e32 v1, v1, v19
	v_xor_b32_e32 v19, vcc_hi, v5
	v_xor_b32_e32 v5, vcc_lo, v5
	v_and_b32_e32 v18, v18, v5
	v_lshlrev_b32_e32 v5, 28, v0
	v_cmp_gt_i64_e32 vcc, 0, v[4:5]
	v_not_b32_e32 v5, v5
	v_ashrrev_i32_e32 v5, 31, v5
	v_and_b32_e32 v1, v1, v19
	v_xor_b32_e32 v19, vcc_hi, v5
	v_xor_b32_e32 v5, vcc_lo, v5
	v_and_b32_e32 v18, v18, v5
	v_lshlrev_b32_e32 v5, 27, v0
	v_cmp_gt_i64_e32 vcc, 0, v[4:5]
	v_not_b32_e32 v5, v5
	;; [unrolled: 8-line block ×4, first 2 shown]
	v_ashrrev_i32_e32 v5, 31, v5
	v_and_b32_e32 v1, v1, v19
	v_xor_b32_e32 v19, vcc_hi, v5
	v_xor_b32_e32 v5, vcc_lo, v5
	v_and_b32_e32 v18, v18, v5
	v_lshlrev_b32_e32 v5, 24, v0
	v_not_b32_e32 v0, v5
	v_cmp_gt_i64_e32 vcc, 0, v[4:5]
	v_ashrrev_i32_e32 v0, 31, v0
	v_xor_b32_e32 v4, vcc_hi, v0
	v_xor_b32_e32 v0, vcc_lo, v0
	; wave barrier
	ds_read_b32 v16, v17 offset:64
	v_and_b32_e32 v1, v1, v19
	v_and_b32_e32 v0, v18, v0
	;; [unrolled: 1-line block ×3, first 2 shown]
	v_mbcnt_lo_u32_b32 v4, v0, 0
	v_mbcnt_hi_u32_b32 v18, v1, v4
	v_cmp_eq_u32_e32 vcc, 0, v18
	v_cmp_ne_u64_e64 s[0:1], 0, v[0:1]
	s_and_b64 s[2:3], s[0:1], vcc
	; wave barrier
	s_and_saveexec_b64 s[0:1], s[2:3]
	s_cbranch_execz .LBB24_91
; %bb.90:
	v_bcnt_u32_b32 v0, v0, 0
	v_bcnt_u32_b32 v0, v1, v0
	s_waitcnt lgkmcnt(0)
	v_add_u32_e32 v0, v16, v0
	ds_write_b32 v17, v0 offset:64
.LBB24_91:
	s_or_b64 exec, exec, s[0:1]
	s_waitcnt vmcnt(3)
	v_lshrrev_b32_sdwa v0, s48, v9 dst_sel:DWORD dst_unused:UNUSED_PAD src0_sel:DWORD src1_sel:WORD_0
	v_and_b32_e32 v4, s14, v0
	v_and_b32_e32 v1, 1, v4
	v_add_co_u32_e32 v5, vcc, -1, v1
	v_addc_co_u32_e64 v22, s[0:1], 0, -1, vcc
	v_cmp_ne_u32_e32 vcc, 0, v1
	v_mul_u32_u24_e32 v0, 17, v4
	v_xor_b32_e32 v1, vcc_hi, v22
	v_add_lshl_u32 v20, v21, v0, 2
	v_mov_b32_e32 v0, 0
	v_and_b32_e32 v22, exec_hi, v1
	v_lshlrev_b32_e32 v1, 30, v4
	v_xor_b32_e32 v5, vcc_lo, v5
	v_cmp_gt_i64_e32 vcc, 0, v[0:1]
	v_not_b32_e32 v1, v1
	v_ashrrev_i32_e32 v1, 31, v1
	v_and_b32_e32 v5, exec_lo, v5
	v_xor_b32_e32 v23, vcc_hi, v1
	v_xor_b32_e32 v1, vcc_lo, v1
	v_and_b32_e32 v5, v5, v1
	v_lshlrev_b32_e32 v1, 29, v4
	v_cmp_gt_i64_e32 vcc, 0, v[0:1]
	v_not_b32_e32 v1, v1
	v_ashrrev_i32_e32 v1, 31, v1
	v_and_b32_e32 v22, v22, v23
	v_xor_b32_e32 v23, vcc_hi, v1
	v_xor_b32_e32 v1, vcc_lo, v1
	v_and_b32_e32 v5, v5, v1
	v_lshlrev_b32_e32 v1, 28, v4
	v_cmp_gt_i64_e32 vcc, 0, v[0:1]
	v_not_b32_e32 v1, v1
	v_ashrrev_i32_e32 v1, 31, v1
	v_and_b32_e32 v22, v22, v23
	;; [unrolled: 8-line block ×5, first 2 shown]
	v_xor_b32_e32 v23, vcc_hi, v1
	v_xor_b32_e32 v1, vcc_lo, v1
	v_and_b32_e32 v22, v22, v23
	v_and_b32_e32 v23, v5, v1
	v_lshlrev_b32_e32 v1, 24, v4
	v_cmp_gt_i64_e32 vcc, 0, v[0:1]
	v_not_b32_e32 v1, v1
	v_ashrrev_i32_e32 v1, 31, v1
	v_xor_b32_e32 v4, vcc_hi, v1
	v_xor_b32_e32 v1, vcc_lo, v1
	; wave barrier
	ds_read_b32 v19, v20 offset:64
	v_and_b32_e32 v5, v22, v4
	v_and_b32_e32 v4, v23, v1
	v_mbcnt_lo_u32_b32 v1, v4, 0
	v_mbcnt_hi_u32_b32 v22, v5, v1
	v_cmp_eq_u32_e32 vcc, 0, v22
	v_cmp_ne_u64_e64 s[0:1], 0, v[4:5]
	s_and_b64 s[2:3], s[0:1], vcc
	; wave barrier
	s_and_saveexec_b64 s[0:1], s[2:3]
	s_cbranch_execz .LBB24_93
; %bb.92:
	v_bcnt_u32_b32 v1, v4, 0
	v_bcnt_u32_b32 v1, v5, v1
	s_waitcnt lgkmcnt(0)
	v_add_u32_e32 v1, v19, v1
	ds_write_b32 v20, v1 offset:64
.LBB24_93:
	s_or_b64 exec, exec, s[0:1]
	s_waitcnt vmcnt(2)
	v_lshrrev_b32_sdwa v1, s48, v8 dst_sel:DWORD dst_unused:UNUSED_PAD src0_sel:DWORD src1_sel:WORD_0
	v_and_b32_e32 v4, s14, v1
	v_mul_u32_u24_e32 v1, 17, v4
	v_add_lshl_u32 v24, v21, v1, 2
	v_and_b32_e32 v1, 1, v4
	v_add_co_u32_e32 v5, vcc, -1, v1
	v_addc_co_u32_e64 v25, s[0:1], 0, -1, vcc
	v_cmp_ne_u32_e32 vcc, 0, v1
	v_xor_b32_e32 v1, vcc_hi, v25
	v_and_b32_e32 v25, exec_hi, v1
	v_lshlrev_b32_e32 v1, 30, v4
	v_xor_b32_e32 v5, vcc_lo, v5
	v_cmp_gt_i64_e32 vcc, 0, v[0:1]
	v_not_b32_e32 v1, v1
	v_ashrrev_i32_e32 v1, 31, v1
	v_and_b32_e32 v5, exec_lo, v5
	v_xor_b32_e32 v26, vcc_hi, v1
	v_xor_b32_e32 v1, vcc_lo, v1
	v_and_b32_e32 v5, v5, v1
	v_lshlrev_b32_e32 v1, 29, v4
	v_cmp_gt_i64_e32 vcc, 0, v[0:1]
	v_not_b32_e32 v1, v1
	v_ashrrev_i32_e32 v1, 31, v1
	v_and_b32_e32 v25, v25, v26
	v_xor_b32_e32 v26, vcc_hi, v1
	v_xor_b32_e32 v1, vcc_lo, v1
	v_and_b32_e32 v5, v5, v1
	v_lshlrev_b32_e32 v1, 28, v4
	v_cmp_gt_i64_e32 vcc, 0, v[0:1]
	v_not_b32_e32 v1, v1
	v_ashrrev_i32_e32 v1, 31, v1
	v_and_b32_e32 v25, v25, v26
	;; [unrolled: 8-line block ×5, first 2 shown]
	v_xor_b32_e32 v26, vcc_hi, v1
	v_xor_b32_e32 v1, vcc_lo, v1
	v_and_b32_e32 v5, v5, v1
	v_lshlrev_b32_e32 v1, 24, v4
	v_cmp_gt_i64_e32 vcc, 0, v[0:1]
	v_not_b32_e32 v0, v1
	v_ashrrev_i32_e32 v0, 31, v0
	v_xor_b32_e32 v1, vcc_hi, v0
	v_xor_b32_e32 v0, vcc_lo, v0
	; wave barrier
	ds_read_b32 v23, v24 offset:64
	v_and_b32_e32 v25, v25, v26
	v_and_b32_e32 v0, v5, v0
	;; [unrolled: 1-line block ×3, first 2 shown]
	v_mbcnt_lo_u32_b32 v4, v0, 0
	v_mbcnt_hi_u32_b32 v25, v1, v4
	v_cmp_eq_u32_e32 vcc, 0, v25
	v_cmp_ne_u64_e64 s[0:1], 0, v[0:1]
	s_and_b64 s[2:3], s[0:1], vcc
	; wave barrier
	s_and_saveexec_b64 s[0:1], s[2:3]
	s_cbranch_execz .LBB24_95
; %bb.94:
	v_bcnt_u32_b32 v0, v0, 0
	v_bcnt_u32_b32 v0, v1, v0
	s_waitcnt lgkmcnt(0)
	v_add_u32_e32 v0, v23, v0
	ds_write_b32 v24, v0 offset:64
.LBB24_95:
	s_or_b64 exec, exec, s[0:1]
	s_waitcnt vmcnt(1)
	v_lshrrev_b32_sdwa v0, s48, v7 dst_sel:DWORD dst_unused:UNUSED_PAD src0_sel:DWORD src1_sel:WORD_0
	v_and_b32_e32 v4, s14, v0
	v_and_b32_e32 v1, 1, v4
	v_add_co_u32_e32 v5, vcc, -1, v1
	v_addc_co_u32_e64 v28, s[0:1], 0, -1, vcc
	v_cmp_ne_u32_e32 vcc, 0, v1
	v_mul_u32_u24_e32 v0, 17, v4
	v_xor_b32_e32 v1, vcc_hi, v28
	v_add_lshl_u32 v27, v21, v0, 2
	v_mov_b32_e32 v0, 0
	v_and_b32_e32 v28, exec_hi, v1
	v_lshlrev_b32_e32 v1, 30, v4
	v_xor_b32_e32 v5, vcc_lo, v5
	v_cmp_gt_i64_e32 vcc, 0, v[0:1]
	v_not_b32_e32 v1, v1
	v_ashrrev_i32_e32 v1, 31, v1
	v_and_b32_e32 v5, exec_lo, v5
	v_xor_b32_e32 v29, vcc_hi, v1
	v_xor_b32_e32 v1, vcc_lo, v1
	v_and_b32_e32 v5, v5, v1
	v_lshlrev_b32_e32 v1, 29, v4
	v_cmp_gt_i64_e32 vcc, 0, v[0:1]
	v_not_b32_e32 v1, v1
	v_ashrrev_i32_e32 v1, 31, v1
	v_and_b32_e32 v28, v28, v29
	v_xor_b32_e32 v29, vcc_hi, v1
	v_xor_b32_e32 v1, vcc_lo, v1
	v_and_b32_e32 v5, v5, v1
	v_lshlrev_b32_e32 v1, 28, v4
	v_cmp_gt_i64_e32 vcc, 0, v[0:1]
	v_not_b32_e32 v1, v1
	v_ashrrev_i32_e32 v1, 31, v1
	v_and_b32_e32 v28, v28, v29
	;; [unrolled: 8-line block ×5, first 2 shown]
	v_xor_b32_e32 v29, vcc_hi, v1
	v_xor_b32_e32 v1, vcc_lo, v1
	v_and_b32_e32 v28, v28, v29
	v_and_b32_e32 v29, v5, v1
	v_lshlrev_b32_e32 v1, 24, v4
	v_cmp_gt_i64_e32 vcc, 0, v[0:1]
	v_not_b32_e32 v1, v1
	v_ashrrev_i32_e32 v1, 31, v1
	v_xor_b32_e32 v4, vcc_hi, v1
	v_xor_b32_e32 v1, vcc_lo, v1
	; wave barrier
	ds_read_b32 v26, v27 offset:64
	v_and_b32_e32 v5, v28, v4
	v_and_b32_e32 v4, v29, v1
	v_mbcnt_lo_u32_b32 v1, v4, 0
	v_mbcnt_hi_u32_b32 v28, v5, v1
	v_cmp_eq_u32_e32 vcc, 0, v28
	v_cmp_ne_u64_e64 s[0:1], 0, v[4:5]
	s_and_b64 s[2:3], s[0:1], vcc
	; wave barrier
	s_and_saveexec_b64 s[0:1], s[2:3]
	s_cbranch_execz .LBB24_97
; %bb.96:
	v_bcnt_u32_b32 v1, v4, 0
	v_bcnt_u32_b32 v1, v5, v1
	s_waitcnt lgkmcnt(0)
	v_add_u32_e32 v1, v26, v1
	ds_write_b32 v27, v1 offset:64
.LBB24_97:
	s_or_b64 exec, exec, s[0:1]
	s_waitcnt vmcnt(0)
	v_lshrrev_b32_sdwa v1, s48, v6 dst_sel:DWORD dst_unused:UNUSED_PAD src0_sel:DWORD src1_sel:WORD_0
	v_and_b32_e32 v4, s14, v1
	v_mul_u32_u24_e32 v1, 17, v4
	v_add_lshl_u32 v29, v21, v1, 2
	v_and_b32_e32 v1, 1, v4
	v_add_co_u32_e32 v5, vcc, -1, v1
	v_addc_co_u32_e64 v31, s[0:1], 0, -1, vcc
	v_cmp_ne_u32_e32 vcc, 0, v1
	v_xor_b32_e32 v1, vcc_hi, v31
	v_and_b32_e32 v31, exec_hi, v1
	v_lshlrev_b32_e32 v1, 30, v4
	v_xor_b32_e32 v5, vcc_lo, v5
	v_cmp_gt_i64_e32 vcc, 0, v[0:1]
	v_not_b32_e32 v1, v1
	v_ashrrev_i32_e32 v1, 31, v1
	v_and_b32_e32 v5, exec_lo, v5
	v_xor_b32_e32 v32, vcc_hi, v1
	v_xor_b32_e32 v1, vcc_lo, v1
	v_and_b32_e32 v5, v5, v1
	v_lshlrev_b32_e32 v1, 29, v4
	v_cmp_gt_i64_e32 vcc, 0, v[0:1]
	v_not_b32_e32 v1, v1
	v_ashrrev_i32_e32 v1, 31, v1
	v_and_b32_e32 v31, v31, v32
	v_xor_b32_e32 v32, vcc_hi, v1
	v_xor_b32_e32 v1, vcc_lo, v1
	v_and_b32_e32 v5, v5, v1
	v_lshlrev_b32_e32 v1, 28, v4
	v_cmp_gt_i64_e32 vcc, 0, v[0:1]
	v_not_b32_e32 v1, v1
	v_ashrrev_i32_e32 v1, 31, v1
	v_and_b32_e32 v31, v31, v32
	;; [unrolled: 8-line block ×5, first 2 shown]
	v_xor_b32_e32 v32, vcc_hi, v1
	v_xor_b32_e32 v1, vcc_lo, v1
	v_and_b32_e32 v5, v5, v1
	v_lshlrev_b32_e32 v1, 24, v4
	v_cmp_gt_i64_e32 vcc, 0, v[0:1]
	v_not_b32_e32 v0, v1
	v_ashrrev_i32_e32 v0, 31, v0
	v_xor_b32_e32 v1, vcc_hi, v0
	v_xor_b32_e32 v0, vcc_lo, v0
	; wave barrier
	ds_read_b32 v21, v29 offset:64
	v_and_b32_e32 v31, v31, v32
	v_and_b32_e32 v0, v5, v0
	;; [unrolled: 1-line block ×3, first 2 shown]
	v_mbcnt_lo_u32_b32 v4, v0, 0
	v_mbcnt_hi_u32_b32 v31, v1, v4
	v_cmp_eq_u32_e32 vcc, 0, v31
	v_cmp_ne_u64_e64 s[0:1], 0, v[0:1]
	v_add_u32_e32 v30, 64, v13
	s_and_b64 s[2:3], s[0:1], vcc
	; wave barrier
	s_and_saveexec_b64 s[0:1], s[2:3]
	s_cbranch_execz .LBB24_99
; %bb.98:
	v_bcnt_u32_b32 v0, v0, 0
	v_bcnt_u32_b32 v0, v1, v0
	s_waitcnt lgkmcnt(0)
	v_add_u32_e32 v0, v21, v0
	ds_write_b32 v29, v0 offset:64
.LBB24_99:
	s_or_b64 exec, exec, s[0:1]
	; wave barrier
	s_waitcnt lgkmcnt(0)
	s_barrier
	ds_read2_b32 v[4:5], v13 offset0:16 offset1:17
	ds_read2_b32 v[0:1], v30 offset0:2 offset1:3
	ds_read_b32 v32, v30 offset:16
	v_cmp_lt_u32_e64 s[8:9], 31, v11
	s_waitcnt lgkmcnt(1)
	v_add3_u32 v33, v5, v4, v0
	s_waitcnt lgkmcnt(0)
	v_add3_u32 v32, v33, v1, v32
	v_and_b32_e32 v33, 15, v11
	v_cmp_eq_u32_e32 vcc, 0, v33
	v_mov_b32_dpp v34, v32 row_shr:1 row_mask:0xf bank_mask:0xf
	v_cndmask_b32_e64 v34, v34, 0, vcc
	v_add_u32_e32 v32, v34, v32
	v_cmp_lt_u32_e64 s[0:1], 1, v33
	v_cmp_lt_u32_e64 s[2:3], 3, v33
	v_mov_b32_dpp v34, v32 row_shr:2 row_mask:0xf bank_mask:0xf
	v_cndmask_b32_e64 v34, 0, v34, s[0:1]
	v_add_u32_e32 v32, v32, v34
	v_cmp_lt_u32_e64 s[4:5], 7, v33
	s_nop 0
	v_mov_b32_dpp v34, v32 row_shr:4 row_mask:0xf bank_mask:0xf
	v_cndmask_b32_e64 v34, 0, v34, s[2:3]
	v_add_u32_e32 v32, v32, v34
	s_nop 1
	v_mov_b32_dpp v34, v32 row_shr:8 row_mask:0xf bank_mask:0xf
	v_cndmask_b32_e64 v33, 0, v34, s[4:5]
	v_add_u32_e32 v32, v32, v33
	v_bfe_i32 v34, v11, 4, 1
	s_nop 0
	v_mov_b32_dpp v33, v32 row_bcast:15 row_mask:0xf bank_mask:0xf
	v_and_b32_e32 v33, v34, v33
	v_add_u32_e32 v32, v32, v33
	v_and_b32_e32 v34, 63, v2
	s_nop 0
	v_mov_b32_dpp v33, v32 row_bcast:31 row_mask:0xf bank_mask:0xf
	v_cndmask_b32_e64 v33, 0, v33, s[8:9]
	v_add_u32_e32 v32, v32, v33
	v_lshrrev_b32_e32 v33, 6, v2
	v_cmp_eq_u32_e64 s[8:9], 63, v34
	s_and_saveexec_b64 s[12:13], s[8:9]
	s_cbranch_execz .LBB24_101
; %bb.100:
	v_lshlrev_b32_e32 v34, 2, v33
	ds_write_b32 v34, v32
.LBB24_101:
	s_or_b64 exec, exec, s[12:13]
	v_cmp_gt_u32_e64 s[8:9], 16, v2
	s_waitcnt lgkmcnt(0)
	s_barrier
	s_and_saveexec_b64 s[12:13], s[8:9]
	s_cbranch_execz .LBB24_103
; %bb.102:
	v_lshlrev_b32_e32 v34, 2, v2
	ds_read_b32 v35, v34
	s_waitcnt lgkmcnt(0)
	s_nop 0
	v_mov_b32_dpp v36, v35 row_shr:1 row_mask:0xf bank_mask:0xf
	v_cndmask_b32_e64 v36, v36, 0, vcc
	v_add_u32_e32 v35, v36, v35
	s_nop 1
	v_mov_b32_dpp v36, v35 row_shr:2 row_mask:0xf bank_mask:0xf
	v_cndmask_b32_e64 v36, 0, v36, s[0:1]
	v_add_u32_e32 v35, v35, v36
	s_nop 1
	v_mov_b32_dpp v36, v35 row_shr:4 row_mask:0xf bank_mask:0xf
	v_cndmask_b32_e64 v36, 0, v36, s[2:3]
	;; [unrolled: 4-line block ×3, first 2 shown]
	v_add_u32_e32 v35, v35, v36
	ds_write_b32 v34, v35
.LBB24_103:
	s_or_b64 exec, exec, s[12:13]
	v_cmp_lt_u32_e32 vcc, 63, v2
	v_mov_b32_e32 v34, 0
	s_waitcnt lgkmcnt(0)
	s_barrier
	s_and_saveexec_b64 s[0:1], vcc
	s_cbranch_execz .LBB24_105
; %bb.104:
	v_lshl_add_u32 v33, v33, 2, -4
	ds_read_b32 v34, v33
.LBB24_105:
	s_or_b64 exec, exec, s[0:1]
	v_add_u32_e32 v33, -1, v11
	v_and_b32_e32 v35, 64, v11
	v_cmp_lt_i32_e32 vcc, v33, v35
	v_cndmask_b32_e32 v33, v33, v11, vcc
	s_waitcnt lgkmcnt(0)
	v_add_u32_e32 v32, v34, v32
	v_lshlrev_b32_e32 v33, 2, v33
	ds_bpermute_b32 v32, v33, v32
	v_cmp_eq_u32_e32 vcc, 0, v11
	s_movk_i32 s2, 0xff
	s_movk_i32 s3, 0x100
	v_cmp_lt_u32_e64 s[0:1], s2, v2
	s_waitcnt lgkmcnt(0)
	v_cndmask_b32_e32 v32, v32, v34, vcc
	v_cmp_ne_u32_e32 vcc, 0, v2
	v_cndmask_b32_e32 v32, 0, v32, vcc
	v_add_u32_e32 v4, v32, v4
	v_add_u32_e32 v5, v4, v5
	;; [unrolled: 1-line block ×4, first 2 shown]
	ds_write2_b32 v13, v32, v4 offset0:16 offset1:17
	ds_write2_b32 v30, v5, v0 offset0:2 offset1:3
	ds_write_b32 v30, v1 offset:16
	s_waitcnt lgkmcnt(0)
	s_barrier
	ds_read_b32 v4, v14 offset:64
	ds_read_b32 v5, v17 offset:64
	;; [unrolled: 1-line block ×6, first 2 shown]
	v_cmp_gt_u32_e32 vcc, s3, v2
	v_pk_mov_b32 v[0:1], 0, 0
                                        ; implicit-def: $vgpr13
	s_and_saveexec_b64 s[4:5], vcc
	s_cbranch_execz .LBB24_109
; %bb.106:
	v_mul_u32_u24_e32 v0, 17, v2
	v_lshlrev_b32_e32 v13, 2, v0
	ds_read_b32 v0, v13 offset:64
	v_cmp_ne_u32_e64 s[2:3], s2, v2
	v_mov_b32_e32 v1, 0x1800
	s_and_saveexec_b64 s[8:9], s[2:3]
	s_cbranch_execz .LBB24_108
; %bb.107:
	ds_read_b32 v1, v13 offset:132
.LBB24_108:
	s_or_b64 exec, exec, s[8:9]
	s_waitcnt lgkmcnt(0)
	v_sub_u32_e32 v13, v1, v0
	v_mov_b32_e32 v1, 0
.LBB24_109:
	s_or_b64 exec, exec, s[4:5]
	s_waitcnt lgkmcnt(5)
	v_add_u32_e32 v20, v4, v15
	s_waitcnt lgkmcnt(4)
	v_add3_u32 v18, v18, v16, v5
	v_lshlrev_b32_e32 v4, 1, v20
	s_waitcnt lgkmcnt(3)
	v_add3_u32 v17, v22, v19, v14
	s_waitcnt lgkmcnt(0)
	s_barrier
	ds_write_b16 v4, v3 offset:2048
	v_lshlrev_b32_e32 v3, 1, v18
	v_add3_u32 v16, v25, v23, v24
	ds_write_b16 v3, v12 offset:2048
	v_lshlrev_b32_e32 v3, 1, v17
	v_add3_u32 v15, v28, v26, v27
	;; [unrolled: 3-line block ×3, first 2 shown]
	ds_write_b16 v3, v8 offset:2048
	v_lshlrev_b32_e32 v3, 1, v15
	ds_write_b16 v3, v7 offset:2048
	v_lshlrev_b32_e32 v3, 1, v14
	ds_write_b16 v3, v6 offset:2048
	s_waitcnt lgkmcnt(0)
	s_barrier
	s_and_saveexec_b64 s[2:3], s[0:1]
	s_xor_b64 s[0:1], exec, s[2:3]
; %bb.110:
	v_mov_b32_e32 v3, 0
; %bb.111:
	s_andn2_saveexec_b64 s[2:3], s[0:1]
	s_cbranch_execz .LBB24_121
; %bb.112:
	v_lshl_or_b32 v4, s6, 8, v2
	v_mov_b32_e32 v5, 0
	v_lshlrev_b64 v[6:7], 2, v[4:5]
	v_mov_b32_e32 v3, s35
	v_add_co_u32_e64 v6, s[0:1], s34, v6
	v_addc_co_u32_e64 v7, s[0:1], v3, v7, s[0:1]
	v_or_b32_e32 v4, 2.0, v13
	s_mov_b64 s[4:5], 0
	s_brev_b32 s15, 1
	s_mov_b32 s16, s6
	v_mov_b32_e32 v12, 0
	global_store_dword v[6:7], v4, off
                                        ; implicit-def: $sgpr0_sgpr1
	s_branch .LBB24_115
.LBB24_113:                             ;   in Loop: Header=BB24_115 Depth=1
	s_or_b64 exec, exec, s[12:13]
.LBB24_114:                             ;   in Loop: Header=BB24_115 Depth=1
	s_or_b64 exec, exec, s[8:9]
	v_and_b32_e32 v8, 0x3fffffff, v19
	v_add_u32_e32 v12, v8, v12
	v_cmp_eq_u32_e64 s[0:1], s15, v4
	s_and_b64 s[8:9], exec, s[0:1]
	s_or_b64 s[4:5], s[8:9], s[4:5]
	s_andn2_b64 exec, exec, s[4:5]
	s_cbranch_execz .LBB24_120
.LBB24_115:                             ; =>This Loop Header: Depth=1
                                        ;     Child Loop BB24_118 Depth 2
	s_or_b64 s[0:1], s[0:1], exec
	s_cmp_eq_u32 s16, 0
	s_cbranch_scc1 .LBB24_119
; %bb.116:                              ;   in Loop: Header=BB24_115 Depth=1
	s_add_i32 s16, s16, -1
	v_lshl_or_b32 v4, s16, 8, v2
	v_lshlrev_b64 v[8:9], 2, v[4:5]
	v_add_co_u32_e64 v8, s[0:1], s34, v8
	v_addc_co_u32_e64 v9, s[0:1], v3, v9, s[0:1]
	global_load_dword v19, v[8:9], off glc
	s_waitcnt vmcnt(0)
	v_and_b32_e32 v4, -2.0, v19
	v_cmp_eq_u32_e64 s[0:1], 0, v4
	s_and_saveexec_b64 s[8:9], s[0:1]
	s_cbranch_execz .LBB24_114
; %bb.117:                              ;   in Loop: Header=BB24_115 Depth=1
	s_mov_b64 s[12:13], 0
.LBB24_118:                             ;   Parent Loop BB24_115 Depth=1
                                        ; =>  This Inner Loop Header: Depth=2
	global_load_dword v19, v[8:9], off glc
	s_waitcnt vmcnt(0)
	v_and_b32_e32 v4, -2.0, v19
	v_cmp_ne_u32_e64 s[0:1], 0, v4
	s_or_b64 s[12:13], s[0:1], s[12:13]
	s_andn2_b64 exec, exec, s[12:13]
	s_cbranch_execnz .LBB24_118
	s_branch .LBB24_113
.LBB24_119:                             ;   in Loop: Header=BB24_115 Depth=1
                                        ; implicit-def: $sgpr16
	s_and_b64 s[8:9], exec, s[0:1]
	s_or_b64 s[4:5], s[8:9], s[4:5]
	s_andn2_b64 exec, exec, s[4:5]
	s_cbranch_execnz .LBB24_115
.LBB24_120:
	s_or_b64 exec, exec, s[4:5]
	v_add_u32_e32 v3, v12, v13
	v_or_b32_e32 v3, 0x80000000, v3
	global_store_dword v[6:7], v3, off
	v_lshlrev_b32_e32 v6, 3, v2
	global_load_dwordx2 v[4:5], v6, s[44:45]
	v_sub_co_u32_e64 v7, s[0:1], v12, v0
	v_subb_co_u32_e64 v8, s[0:1], 0, v1, s[0:1]
	v_mov_b32_e32 v3, 0
	s_waitcnt vmcnt(0)
	v_add_co_u32_e64 v4, s[0:1], v7, v4
	v_addc_co_u32_e64 v5, s[0:1], v8, v5, s[0:1]
	ds_write_b64 v6, v[4:5]
.LBB24_121:
	s_or_b64 exec, exec, s[2:3]
	v_lshlrev_b32_e32 v4, 1, v2
	s_waitcnt lgkmcnt(0)
	s_barrier
	ds_read_u16 v12, v4 offset:2048
	v_lshlrev_b32_e32 v19, 1, v2
	ds_read_u16 v21, v19 offset:4096
	ds_read_u16 v34, v19 offset:8192
	;; [unrolled: 1-line block ×3, first 2 shown]
	v_mov_b32_e32 v8, s39
	v_or_b32_e32 v40, 0x800, v2
	s_waitcnt lgkmcnt(3)
	v_lshrrev_b32_sdwa v4, s48, v12 dst_sel:DWORD dst_unused:UNUSED_PAD src0_sel:DWORD src1_sel:WORD_0
	v_and_b32_e32 v4, s14, v4
	v_lshlrev_b32_e32 v36, 3, v4
	s_waitcnt lgkmcnt(2)
	v_lshrrev_b32_sdwa v4, s48, v21 dst_sel:DWORD dst_unused:UNUSED_PAD src0_sel:DWORD src1_sel:WORD_0
	v_and_b32_e32 v6, s14, v4
	ds_read_b64 v[4:5], v36
	v_lshlrev_b32_e32 v37, 3, v6
	ds_read_u16 v38, v19 offset:6144
	ds_read_b64 v[6:7], v37
	ds_read_u16 v39, v19 offset:10240
	v_mov_b32_e32 v43, s39
	v_lshlrev_b32_e32 v20, 3, v20
	s_waitcnt lgkmcnt(3)
	v_lshlrev_b64 v[4:5], 1, v[4:5]
	v_add_co_u32_e64 v9, s[0:1], s38, v4
	v_addc_co_u32_e64 v22, s[0:1], v8, v5, s[0:1]
	v_lshlrev_b64 v[4:5], 1, v[2:3]
	v_add_co_u32_e64 v8, s[0:1], v9, v4
	v_addc_co_u32_e64 v9, s[0:1], v22, v5, s[0:1]
	s_waitcnt lgkmcnt(1)
	v_lshlrev_b64 v[6:7], 1, v[6:7]
	global_store_short v[8:9], v12, off
	v_or_b32_e32 v12, 0x800, v19
	v_mov_b32_e32 v8, s39
	v_add_co_u32_e64 v19, s[0:1], s38, v6
	v_addc_co_u32_e64 v22, s[0:1], v8, v7, s[0:1]
	s_lshl_b64 s[0:1], s[30:31], 3
	s_add_u32 s0, s40, s0
	s_addc_u32 s1, s41, s1
	v_lshlrev_b32_e32 v6, 3, v11
	v_mov_b32_e32 v7, s1
	v_add_co_u32_e64 v6, s[0:1], s0, v6
	v_addc_co_u32_e64 v7, s[0:1], 0, v7, s[0:1]
	v_lshlrev_b32_e32 v8, 3, v10
	v_add_co_u32_e64 v6, s[0:1], v6, v8
	v_addc_co_u32_e64 v7, s[0:1], 0, v7, s[0:1]
	global_load_dwordx2 v[8:9], v[6:7], off
	global_load_dwordx2 v[10:11], v[6:7], off offset:512
	v_add_co_u32_e64 v4, s[0:1], v19, v4
	v_addc_co_u32_e64 v5, s[0:1], v22, v5, s[0:1]
	global_store_short v[4:5], v21, off offset:2048
	global_load_dwordx2 v[4:5], v[6:7], off offset:1024
	v_lshrrev_b32_sdwa v19, s48, v38 dst_sel:DWORD dst_unused:UNUSED_PAD src0_sel:DWORD src1_sel:WORD_0
	global_load_dwordx2 v[22:23], v[6:7], off offset:1536
	global_load_dwordx2 v[24:25], v[6:7], off offset:2048
	s_waitcnt lgkmcnt(0)
	v_lshrrev_b32_sdwa v26, s48, v39 dst_sel:DWORD dst_unused:UNUSED_PAD src0_sel:DWORD src1_sel:WORD_0
	global_load_dwordx2 v[6:7], v[6:7], off offset:2560
	v_and_b32_e32 v19, s14, v19
	v_and_b32_e32 v26, s14, v26
	v_lshlrev_b32_e32 v19, 3, v19
	v_lshlrev_b32_e32 v41, 3, v26
	v_lshrrev_b32_sdwa v26, s48, v35 dst_sel:DWORD dst_unused:UNUSED_PAD src0_sel:DWORD src1_sel:WORD_0
	v_and_b32_e32 v28, s14, v26
	ds_read_b64 v[26:27], v19
	v_lshrrev_b32_sdwa v21, s48, v34 dst_sel:DWORD dst_unused:UNUSED_PAD src0_sel:DWORD src1_sel:WORD_0
	v_and_b32_e32 v21, s14, v21
	v_lshlrev_b32_e32 v21, 3, v21
	v_lshlrev_b32_e32 v42, 3, v28
	s_waitcnt lgkmcnt(0)
	v_lshlrev_b64 v[26:27], 1, v[26:27]
	v_add_co_u32_e64 v26, s[0:1], s38, v26
	ds_read_b64 v[28:29], v21
	ds_read_b64 v[30:31], v41
	ds_read_b64 v[32:33], v42
	v_addc_co_u32_e64 v27, s[0:1], v43, v27, s[0:1]
	v_lshlrev_b32_e32 v43, 1, v40
	v_add_co_u32_e64 v26, s[0:1], v26, v43
	v_addc_co_u32_e64 v27, s[0:1], 0, v27, s[0:1]
	global_store_short v[26:27], v38, off
	s_waitcnt lgkmcnt(2)
	v_lshlrev_b64 v[26:27], 1, v[28:29]
	v_or_b32_e32 v38, 0xc00, v2
	v_mov_b32_e32 v28, s39
	v_add_co_u32_e64 v26, s[0:1], s38, v26
	v_addc_co_u32_e64 v27, s[0:1], v28, v27, s[0:1]
	v_lshlrev_b32_e32 v28, 1, v38
	v_add_co_u32_e64 v26, s[0:1], v26, v28
	v_addc_co_u32_e64 v27, s[0:1], 0, v27, s[0:1]
	global_store_short v[26:27], v34, off
	s_waitcnt lgkmcnt(1)
	v_lshlrev_b64 v[26:27], 1, v[30:31]
	v_or_b32_e32 v28, 0x1000, v2
	v_mov_b32_e32 v29, s39
	v_add_co_u32_e64 v26, s[0:1], s38, v26
	;; [unrolled: 10-line block ×3, first 2 shown]
	v_addc_co_u32_e64 v27, s[0:1], v30, v27, s[0:1]
	v_lshlrev_b32_e32 v30, 1, v29
	v_add_co_u32_e64 v26, s[0:1], v26, v30
	v_addc_co_u32_e64 v27, s[0:1], 0, v27, s[0:1]
	global_store_short v[26:27], v35, off
	s_barrier
	v_mad_u32_u24 v12, v2, 6, v12
	s_add_i32 s7, s7, -1
	s_waitcnt vmcnt(10)
	ds_write_b64 v20, v[8:9] offset:2048
	v_lshlrev_b32_e32 v8, 3, v18
	s_waitcnt vmcnt(9)
	ds_write_b64 v8, v[10:11] offset:2048
	v_lshlrev_b32_e32 v8, 3, v17
	s_cmp_eq_u32 s6, s7
	s_waitcnt vmcnt(7)
	ds_write_b64 v8, v[4:5] offset:2048
	v_lshlrev_b32_e32 v4, 3, v16
	s_waitcnt vmcnt(6)
	ds_write_b64 v4, v[22:23] offset:2048
	v_lshlrev_b32_e32 v4, 3, v15
	;; [unrolled: 3-line block ×3, first 2 shown]
	s_waitcnt vmcnt(4)
	ds_write_b64 v4, v[6:7] offset:2048
	s_waitcnt lgkmcnt(0)
	s_barrier
	ds_read_b64 v[4:5], v36
	v_mov_b32_e32 v7, s43
	v_lshlrev_b32_e32 v6, 3, v2
	ds_read_b64 v[8:9], v37
	ds_read_b64 v[10:11], v19
	ds_read_b64 v[14:15], v21
	v_mov_b32_e32 v22, s43
	s_waitcnt lgkmcnt(3)
	v_lshlrev_b64 v[4:5], 3, v[4:5]
	v_add_co_u32_e64 v16, s[0:1], s42, v4
	v_addc_co_u32_e64 v7, s[0:1], v7, v5, s[0:1]
	v_lshlrev_b64 v[4:5], 3, v[2:3]
	v_add_co_u32_e64 v4, s[0:1], v16, v4
	v_addc_co_u32_e64 v5, s[0:1], v7, v5, s[0:1]
	ds_read_b64 v[6:7], v6 offset:2048
	s_waitcnt lgkmcnt(3)
	v_lshlrev_b64 v[8:9], 3, v[8:9]
	ds_read_b64 v[16:17], v41
	ds_read_b64 v[18:19], v12 offset:40960
	ds_read_b64 v[20:21], v42
	v_add_co_u32_e64 v8, s[0:1], s42, v8
	s_waitcnt lgkmcnt(3)
	global_store_dwordx2 v[4:5], v[6:7], off
	ds_read2st64_b64 v[4:7], v12 offset0:16 offset1:32
	v_addc_co_u32_e64 v9, s[0:1], v22, v9, s[0:1]
	v_mov_b32_e32 v22, 0x2000
	v_lshl_or_b32 v22, v2, 3, v22
	v_add_co_u32_e64 v8, s[0:1], v8, v22
	v_addc_co_u32_e64 v9, s[0:1], 0, v9, s[0:1]
	s_waitcnt lgkmcnt(0)
	global_store_dwordx2 v[8:9], v[4:5], off
	v_lshlrev_b64 v[4:5], 3, v[10:11]
	v_mov_b32_e32 v8, s43
	v_add_co_u32_e64 v4, s[0:1], s42, v4
	v_addc_co_u32_e64 v5, s[0:1], v8, v5, s[0:1]
	v_lshlrev_b32_e32 v8, 3, v40
	v_add_co_u32_e64 v4, s[0:1], v4, v8
	v_addc_co_u32_e64 v5, s[0:1], 0, v5, s[0:1]
	global_store_dwordx2 v[4:5], v[6:7], off
	ds_read2st64_b64 v[4:7], v12 offset0:48 offset1:64
	v_lshlrev_b64 v[8:9], 3, v[14:15]
	v_mov_b32_e32 v10, s43
	v_add_co_u32_e64 v8, s[0:1], s42, v8
	v_addc_co_u32_e64 v9, s[0:1], v10, v9, s[0:1]
	v_lshlrev_b32_e32 v10, 3, v38
	v_add_co_u32_e64 v8, s[0:1], v8, v10
	v_addc_co_u32_e64 v9, s[0:1], 0, v9, s[0:1]
	s_waitcnt lgkmcnt(0)
	global_store_dwordx2 v[8:9], v[4:5], off
	v_lshlrev_b64 v[4:5], 3, v[16:17]
	v_mov_b32_e32 v8, s43
	v_add_co_u32_e64 v4, s[0:1], s42, v4
	v_addc_co_u32_e64 v5, s[0:1], v8, v5, s[0:1]
	v_lshlrev_b32_e32 v8, 3, v28
	v_add_co_u32_e64 v4, s[0:1], v4, v8
	v_addc_co_u32_e64 v5, s[0:1], 0, v5, s[0:1]
	global_store_dwordx2 v[4:5], v[6:7], off
	v_lshlrev_b64 v[4:5], 3, v[20:21]
	v_mov_b32_e32 v6, s43
	v_add_co_u32_e64 v4, s[0:1], s42, v4
	v_addc_co_u32_e64 v5, s[0:1], v6, v5, s[0:1]
	v_lshlrev_b32_e32 v6, 3, v29
	v_add_co_u32_e64 v4, s[0:1], v4, v6
	v_addc_co_u32_e64 v5, s[0:1], 0, v5, s[0:1]
	s_cselect_b64 s[0:1], -1, 0
	s_and_b64 s[2:3], vcc, s[0:1]
	global_store_dwordx2 v[4:5], v[18:19], off
                                        ; implicit-def: $vgpr6_vgpr7
	s_and_saveexec_b64 s[0:1], s[2:3]
; %bb.122:
	v_add_co_u32_e32 v6, vcc, v0, v13
	v_addc_co_u32_e32 v7, vcc, 0, v1, vcc
	s_or_b64 s[10:11], s[10:11], exec
; %bb.123:
	s_or_b64 exec, exec, s[0:1]
.LBB24_124:
	s_and_saveexec_b64 s[0:1], s[10:11]
	s_cbranch_execnz .LBB24_126
; %bb.125:
	s_endpgm
.LBB24_126:
	v_lshlrev_b32_e32 v4, 3, v2
	v_lshlrev_b64 v[0:1], 3, v[2:3]
	ds_read_b64 v[2:3], v4
	v_mov_b32_e32 v5, s47
	v_add_co_u32_e32 v0, vcc, s46, v0
	v_addc_co_u32_e32 v1, vcc, v5, v1, vcc
	s_waitcnt lgkmcnt(0)
	v_add_co_u32_e32 v2, vcc, v2, v6
	v_addc_co_u32_e32 v3, vcc, v3, v7, vcc
	global_store_dwordx2 v[0:1], v[2:3], off
	s_endpgm
.LBB24_127:
	global_load_dwordx2 v[6:7], v[18:19], off
	s_or_b64 exec, exec, s[28:29]
                                        ; implicit-def: $vgpr8_vgpr9
	s_and_saveexec_b64 s[28:29], s[0:1]
	s_cbranch_execz .LBB24_59
.LBB24_128:
	global_load_dwordx2 v[8:9], v[18:19], off offset:512
	s_or_b64 exec, exec, s[28:29]
                                        ; implicit-def: $vgpr10_vgpr11
	s_and_saveexec_b64 s[0:1], s[2:3]
	s_cbranch_execz .LBB24_60
.LBB24_129:
	global_load_dwordx2 v[10:11], v[18:19], off offset:1024
	s_or_b64 exec, exec, s[0:1]
                                        ; implicit-def: $vgpr12_vgpr13
	s_and_saveexec_b64 s[0:1], s[26:27]
	s_cbranch_execz .LBB24_61
.LBB24_130:
	global_load_dwordx2 v[12:13], v[18:19], off offset:1536
	s_or_b64 exec, exec, s[0:1]
                                        ; implicit-def: $vgpr14_vgpr15
	s_and_saveexec_b64 s[0:1], s[8:9]
	s_cbranch_execz .LBB24_62
.LBB24_131:
	global_load_dwordx2 v[14:15], v[18:19], off offset:2048
	s_or_b64 exec, exec, s[0:1]
                                        ; implicit-def: $vgpr16_vgpr17
	s_and_saveexec_b64 s[0:1], s[10:11]
	s_cbranch_execnz .LBB24_63
	s_branch .LBB24_64
.LBB24_132:
	v_lshlrev_b32_e32 v7, 3, v35
	ds_read_b64 v[8:9], v7
	ds_read_b64 v[10:11], v6 offset:2048
	v_mov_b32_e32 v7, s43
	s_waitcnt lgkmcnt(1)
	v_lshlrev_b64 v[8:9], 3, v[8:9]
	v_add_co_u32_e32 v8, vcc, s42, v8
	v_addc_co_u32_e32 v7, vcc, v7, v9, vcc
	v_add_co_u32_e32 v8, vcc, v8, v6
	v_addc_co_u32_e32 v9, vcc, 0, v7, vcc
	s_waitcnt lgkmcnt(0)
	global_store_dwordx2 v[8:9], v[10:11], off
	s_or_b64 exec, exec, s[0:1]
	s_and_saveexec_b64 s[0:1], s[16:17]
	s_cbranch_execz .LBB24_78
.LBB24_133:
	v_lshlrev_b32_e32 v7, 3, v33
	ds_read_b64 v[8:9], v7
	ds_read_b64 v[10:11], v6 offset:10240
	v_mov_b32_e32 v7, s43
	s_waitcnt lgkmcnt(1)
	v_lshlrev_b64 v[8:9], 3, v[8:9]
	v_add_co_u32_e32 v8, vcc, s42, v8
	v_addc_co_u32_e32 v7, vcc, v7, v9, vcc
	v_lshlrev_b32_e32 v9, 3, v27
	v_add_co_u32_e32 v8, vcc, v8, v9
	v_addc_co_u32_e32 v9, vcc, 0, v7, vcc
	s_waitcnt lgkmcnt(0)
	global_store_dwordx2 v[8:9], v[10:11], off
	s_or_b64 exec, exec, s[0:1]
	s_and_saveexec_b64 s[0:1], s[18:19]
	s_cbranch_execz .LBB24_79
.LBB24_134:
	v_lshlrev_b32_e32 v7, 3, v34
	ds_read_b64 v[8:9], v7
	ds_read_b64 v[10:11], v6 offset:18432
	v_mov_b32_e32 v7, s43
	s_waitcnt lgkmcnt(1)
	v_lshlrev_b64 v[8:9], 3, v[8:9]
	v_add_co_u32_e32 v8, vcc, s42, v8
	v_addc_co_u32_e32 v7, vcc, v7, v9, vcc
	v_lshlrev_b32_e32 v9, 3, v28
	v_add_co_u32_e32 v8, vcc, v8, v9
	v_addc_co_u32_e32 v9, vcc, 0, v7, vcc
	s_waitcnt lgkmcnt(0)
	global_store_dwordx2 v[8:9], v[10:11], off
	s_or_b64 exec, exec, s[0:1]
	s_and_saveexec_b64 s[0:1], s[20:21]
	s_cbranch_execz .LBB24_80
.LBB24_135:
	v_lshlrev_b32_e32 v7, 3, v18
	ds_read_b64 v[8:9], v7
	ds_read_b64 v[10:11], v6 offset:26624
	v_mov_b32_e32 v7, s43
	s_waitcnt lgkmcnt(1)
	v_lshlrev_b64 v[8:9], 3, v[8:9]
	v_add_co_u32_e32 v8, vcc, s42, v8
	v_addc_co_u32_e32 v7, vcc, v7, v9, vcc
	v_lshlrev_b32_e32 v9, 3, v29
	v_add_co_u32_e32 v8, vcc, v8, v9
	v_addc_co_u32_e32 v9, vcc, 0, v7, vcc
	s_waitcnt lgkmcnt(0)
	global_store_dwordx2 v[8:9], v[10:11], off
	s_or_b64 exec, exec, s[0:1]
	s_and_saveexec_b64 s[0:1], s[22:23]
	s_cbranch_execz .LBB24_81
.LBB24_136:
	v_lshlrev_b32_e32 v7, 3, v19
	ds_read_b64 v[8:9], v7
	ds_read_b64 v[10:11], v6 offset:34816
	v_mov_b32_e32 v7, s43
	s_waitcnt lgkmcnt(1)
	v_lshlrev_b64 v[8:9], 3, v[8:9]
	v_add_co_u32_e32 v8, vcc, s42, v8
	v_addc_co_u32_e32 v7, vcc, v7, v9, vcc
	v_lshlrev_b32_e32 v9, 3, v30
	v_add_co_u32_e32 v8, vcc, v8, v9
	v_addc_co_u32_e32 v9, vcc, 0, v7, vcc
	s_waitcnt lgkmcnt(0)
	global_store_dwordx2 v[8:9], v[10:11], off
	s_or_b64 exec, exec, s[0:1]
	s_and_saveexec_b64 s[0:1], s[24:25]
	s_cbranch_execnz .LBB24_82
	s_branch .LBB24_83
	.section	.rodata,"a",@progbits
	.p2align	6, 0x0
	.amdhsa_kernel _ZN7rocprim17ROCPRIM_304000_NS6detail25onesweep_iteration_kernelINS1_34wrapped_radix_sort_onesweep_configINS0_14default_configEtN2at4cuda3cub6detail10OpaqueTypeILi8EEEEELb0EPKtPtPKSA_PSA_mNS0_19identity_decomposerEEEvT1_T2_T3_T4_jPT5_SO_PNS1_23onesweep_lookback_stateET6_jjj
		.amdhsa_group_segment_fixed_size 51200
		.amdhsa_private_segment_fixed_size 0
		.amdhsa_kernarg_size 336
		.amdhsa_user_sgpr_count 6
		.amdhsa_user_sgpr_private_segment_buffer 1
		.amdhsa_user_sgpr_dispatch_ptr 0
		.amdhsa_user_sgpr_queue_ptr 0
		.amdhsa_user_sgpr_kernarg_segment_ptr 1
		.amdhsa_user_sgpr_dispatch_id 0
		.amdhsa_user_sgpr_flat_scratch_init 0
		.amdhsa_user_sgpr_kernarg_preload_length 0
		.amdhsa_user_sgpr_kernarg_preload_offset 0
		.amdhsa_user_sgpr_private_segment_size 0
		.amdhsa_uses_dynamic_stack 0
		.amdhsa_system_sgpr_private_segment_wavefront_offset 0
		.amdhsa_system_sgpr_workgroup_id_x 1
		.amdhsa_system_sgpr_workgroup_id_y 0
		.amdhsa_system_sgpr_workgroup_id_z 0
		.amdhsa_system_sgpr_workgroup_info 0
		.amdhsa_system_vgpr_workitem_id 2
		.amdhsa_next_free_vgpr 44
		.amdhsa_next_free_sgpr 52
		.amdhsa_accum_offset 44
		.amdhsa_reserve_vcc 1
		.amdhsa_reserve_flat_scratch 0
		.amdhsa_float_round_mode_32 0
		.amdhsa_float_round_mode_16_64 0
		.amdhsa_float_denorm_mode_32 3
		.amdhsa_float_denorm_mode_16_64 3
		.amdhsa_dx10_clamp 1
		.amdhsa_ieee_mode 1
		.amdhsa_fp16_overflow 0
		.amdhsa_tg_split 0
		.amdhsa_exception_fp_ieee_invalid_op 0
		.amdhsa_exception_fp_denorm_src 0
		.amdhsa_exception_fp_ieee_div_zero 0
		.amdhsa_exception_fp_ieee_overflow 0
		.amdhsa_exception_fp_ieee_underflow 0
		.amdhsa_exception_fp_ieee_inexact 0
		.amdhsa_exception_int_div_zero 0
	.end_amdhsa_kernel
	.section	.text._ZN7rocprim17ROCPRIM_304000_NS6detail25onesweep_iteration_kernelINS1_34wrapped_radix_sort_onesweep_configINS0_14default_configEtN2at4cuda3cub6detail10OpaqueTypeILi8EEEEELb0EPKtPtPKSA_PSA_mNS0_19identity_decomposerEEEvT1_T2_T3_T4_jPT5_SO_PNS1_23onesweep_lookback_stateET6_jjj,"axG",@progbits,_ZN7rocprim17ROCPRIM_304000_NS6detail25onesweep_iteration_kernelINS1_34wrapped_radix_sort_onesweep_configINS0_14default_configEtN2at4cuda3cub6detail10OpaqueTypeILi8EEEEELb0EPKtPtPKSA_PSA_mNS0_19identity_decomposerEEEvT1_T2_T3_T4_jPT5_SO_PNS1_23onesweep_lookback_stateET6_jjj,comdat
.Lfunc_end24:
	.size	_ZN7rocprim17ROCPRIM_304000_NS6detail25onesweep_iteration_kernelINS1_34wrapped_radix_sort_onesweep_configINS0_14default_configEtN2at4cuda3cub6detail10OpaqueTypeILi8EEEEELb0EPKtPtPKSA_PSA_mNS0_19identity_decomposerEEEvT1_T2_T3_T4_jPT5_SO_PNS1_23onesweep_lookback_stateET6_jjj, .Lfunc_end24-_ZN7rocprim17ROCPRIM_304000_NS6detail25onesweep_iteration_kernelINS1_34wrapped_radix_sort_onesweep_configINS0_14default_configEtN2at4cuda3cub6detail10OpaqueTypeILi8EEEEELb0EPKtPtPKSA_PSA_mNS0_19identity_decomposerEEEvT1_T2_T3_T4_jPT5_SO_PNS1_23onesweep_lookback_stateET6_jjj
                                        ; -- End function
	.section	.AMDGPU.csdata,"",@progbits
; Kernel info:
; codeLenInByte = 11276
; NumSgprs: 56
; NumVgprs: 44
; NumAgprs: 0
; TotalNumVgprs: 44
; ScratchSize: 0
; MemoryBound: 0
; FloatMode: 240
; IeeeMode: 1
; LDSByteSize: 51200 bytes/workgroup (compile time only)
; SGPRBlocks: 6
; VGPRBlocks: 5
; NumSGPRsForWavesPerEU: 56
; NumVGPRsForWavesPerEU: 44
; AccumOffset: 44
; Occupancy: 4
; WaveLimiterHint : 1
; COMPUTE_PGM_RSRC2:SCRATCH_EN: 0
; COMPUTE_PGM_RSRC2:USER_SGPR: 6
; COMPUTE_PGM_RSRC2:TRAP_HANDLER: 0
; COMPUTE_PGM_RSRC2:TGID_X_EN: 1
; COMPUTE_PGM_RSRC2:TGID_Y_EN: 0
; COMPUTE_PGM_RSRC2:TGID_Z_EN: 0
; COMPUTE_PGM_RSRC2:TIDIG_COMP_CNT: 2
; COMPUTE_PGM_RSRC3_GFX90A:ACCUM_OFFSET: 10
; COMPUTE_PGM_RSRC3_GFX90A:TG_SPLIT: 0
	.section	.text._ZN7rocprim17ROCPRIM_304000_NS6detail25onesweep_iteration_kernelINS1_34wrapped_radix_sort_onesweep_configINS0_14default_configEtN2at4cuda3cub6detail10OpaqueTypeILi8EEEEELb0EPtSC_PSA_SD_mNS0_19identity_decomposerEEEvT1_T2_T3_T4_jPT5_SK_PNS1_23onesweep_lookback_stateET6_jjj,"axG",@progbits,_ZN7rocprim17ROCPRIM_304000_NS6detail25onesweep_iteration_kernelINS1_34wrapped_radix_sort_onesweep_configINS0_14default_configEtN2at4cuda3cub6detail10OpaqueTypeILi8EEEEELb0EPtSC_PSA_SD_mNS0_19identity_decomposerEEEvT1_T2_T3_T4_jPT5_SK_PNS1_23onesweep_lookback_stateET6_jjj,comdat
	.protected	_ZN7rocprim17ROCPRIM_304000_NS6detail25onesweep_iteration_kernelINS1_34wrapped_radix_sort_onesweep_configINS0_14default_configEtN2at4cuda3cub6detail10OpaqueTypeILi8EEEEELb0EPtSC_PSA_SD_mNS0_19identity_decomposerEEEvT1_T2_T3_T4_jPT5_SK_PNS1_23onesweep_lookback_stateET6_jjj ; -- Begin function _ZN7rocprim17ROCPRIM_304000_NS6detail25onesweep_iteration_kernelINS1_34wrapped_radix_sort_onesweep_configINS0_14default_configEtN2at4cuda3cub6detail10OpaqueTypeILi8EEEEELb0EPtSC_PSA_SD_mNS0_19identity_decomposerEEEvT1_T2_T3_T4_jPT5_SK_PNS1_23onesweep_lookback_stateET6_jjj
	.globl	_ZN7rocprim17ROCPRIM_304000_NS6detail25onesweep_iteration_kernelINS1_34wrapped_radix_sort_onesweep_configINS0_14default_configEtN2at4cuda3cub6detail10OpaqueTypeILi8EEEEELb0EPtSC_PSA_SD_mNS0_19identity_decomposerEEEvT1_T2_T3_T4_jPT5_SK_PNS1_23onesweep_lookback_stateET6_jjj
	.p2align	8
	.type	_ZN7rocprim17ROCPRIM_304000_NS6detail25onesweep_iteration_kernelINS1_34wrapped_radix_sort_onesweep_configINS0_14default_configEtN2at4cuda3cub6detail10OpaqueTypeILi8EEEEELb0EPtSC_PSA_SD_mNS0_19identity_decomposerEEEvT1_T2_T3_T4_jPT5_SK_PNS1_23onesweep_lookback_stateET6_jjj,@function
_ZN7rocprim17ROCPRIM_304000_NS6detail25onesweep_iteration_kernelINS1_34wrapped_radix_sort_onesweep_configINS0_14default_configEtN2at4cuda3cub6detail10OpaqueTypeILi8EEEEELb0EPtSC_PSA_SD_mNS0_19identity_decomposerEEEvT1_T2_T3_T4_jPT5_SK_PNS1_23onesweep_lookback_stateET6_jjj: ; @_ZN7rocprim17ROCPRIM_304000_NS6detail25onesweep_iteration_kernelINS1_34wrapped_radix_sort_onesweep_configINS0_14default_configEtN2at4cuda3cub6detail10OpaqueTypeILi8EEEEELb0EPtSC_PSA_SD_mNS0_19identity_decomposerEEEvT1_T2_T3_T4_jPT5_SK_PNS1_23onesweep_lookback_stateET6_jjj
; %bb.0:
	s_load_dwordx4 s[48:51], s[4:5], 0x44
	s_load_dwordx8 s[36:43], s[4:5], 0x0
	s_load_dwordx4 s[44:47], s[4:5], 0x28
	s_load_dwordx2 s[34:35], s[4:5], 0x38
	s_mul_i32 s30, s6, 0x1800
	s_waitcnt lgkmcnt(0)
	s_cmp_ge_u32 s6, s50
	v_mbcnt_lo_u32_b32 v1, -1, 0
	s_cbranch_scc0 .LBB25_86
; %bb.1:
	s_load_dword s2, s[4:5], 0x20
	s_mulk_i32 s50, 0xe800
	s_mov_b32 s31, 0
	s_lshl_b64 s[0:1], s[30:31], 1
	v_and_b32_e32 v2, 0x3ff, v0
	s_waitcnt lgkmcnt(0)
	s_add_i32 s50, s50, s2
	s_add_u32 s0, s36, s0
	v_mbcnt_hi_u32_b32 v12, -1, v1
	s_addc_u32 s1, s37, s1
	v_and_b32_e32 v3, 0x3c0, v2
	v_lshlrev_b32_e32 v4, 1, v12
	v_mul_u32_u24_e32 v3, 6, v3
	v_mov_b32_e32 v5, s1
	v_add_co_u32_e32 v4, vcc, s0, v4
	v_addc_co_u32_e32 v5, vcc, 0, v5, vcc
	v_lshlrev_b32_e32 v6, 1, v3
	v_add_co_u32_e32 v4, vcc, v4, v6
	v_addc_co_u32_e32 v5, vcc, 0, v5, vcc
	v_or_b32_e32 v6, v12, v3
	v_cmp_gt_u32_e32 vcc, s50, v6
	v_mov_b32_e32 v8, -1
	v_mov_b32_e32 v9, -1
	s_and_saveexec_b64 s[0:1], vcc
	s_cbranch_execz .LBB25_3
; %bb.2:
	global_load_ushort v9, v[4:5], off
.LBB25_3:
	s_or_b64 exec, exec, s[0:1]
	v_add_u32_e32 v7, 64, v6
	v_cmp_gt_u32_e64 s[0:1], s50, v7
	s_and_saveexec_b64 s[2:3], s[0:1]
	s_cbranch_execz .LBB25_5
; %bb.4:
	global_load_ushort v8, v[4:5], off offset:128
.LBB25_5:
	s_or_b64 exec, exec, s[2:3]
	v_add_u32_e32 v7, 0x80, v6
	v_cmp_gt_u32_e64 s[2:3], s50, v7
	v_mov_b32_e32 v10, -1
	v_mov_b32_e32 v11, -1
	s_and_saveexec_b64 s[8:9], s[2:3]
	s_cbranch_execz .LBB25_7
; %bb.6:
	global_load_ushort v11, v[4:5], off offset:256
.LBB25_7:
	s_or_b64 exec, exec, s[8:9]
	v_add_u32_e32 v7, 0xc0, v6
	v_cmp_gt_u32_e64 s[26:27], s50, v7
	s_and_saveexec_b64 s[8:9], s[26:27]
	s_cbranch_execz .LBB25_9
; %bb.8:
	global_load_ushort v10, v[4:5], off offset:384
.LBB25_9:
	s_or_b64 exec, exec, s[8:9]
	v_add_u32_e32 v7, 0x100, v6
	v_cmp_gt_u32_e64 s[8:9], s50, v7
	v_mov_b32_e32 v13, -1
	v_mov_b32_e32 v14, -1
	s_and_saveexec_b64 s[10:11], s[8:9]
	s_cbranch_execz .LBB25_11
; %bb.10:
	global_load_ushort v14, v[4:5], off offset:512
.LBB25_11:
	s_or_b64 exec, exec, s[10:11]
	v_add_u32_e32 v6, 0x140, v6
	v_cmp_gt_u32_e64 s[10:11], s50, v6
	s_and_saveexec_b64 s[12:13], s[10:11]
	s_cbranch_execz .LBB25_13
; %bb.12:
	global_load_ushort v13, v[4:5], off offset:640
.LBB25_13:
	s_or_b64 exec, exec, s[12:13]
	s_load_dword s12, s[4:5], 0x5c
	s_load_dword s7, s[4:5], 0x50
	s_add_u32 s13, s4, 0x50
	s_addc_u32 s14, s5, 0
	v_mov_b32_e32 v4, 0
	s_waitcnt lgkmcnt(0)
	s_lshr_b32 s15, s12, 16
	s_cmp_lt_u32 s6, s7
	s_cselect_b32 s12, 12, 18
	s_add_u32 s12, s13, s12
	s_addc_u32 s13, s14, 0
	global_load_ushort v6, v4, s[12:13]
	s_lshl_b32 s12, -1, s49
	s_waitcnt vmcnt(1)
	v_lshrrev_b32_sdwa v16, s48, v9 dst_sel:DWORD dst_unused:UNUSED_PAD src0_sel:DWORD src1_sel:WORD_0
	s_not_b32 s33, s12
	v_and_b32_e32 v16, s33, v16
	v_and_b32_e32 v18, 1, v16
	v_bfe_u32 v5, v0, 10, 10
	v_bfe_u32 v7, v0, 20, 10
	v_add_co_u32_e64 v19, s[12:13], -1, v18
	v_mad_u32_u24 v7, v7, s15, v5
	v_lshlrev_b32_e32 v5, 30, v16
	v_addc_co_u32_e64 v20, s[12:13], 0, -1, s[12:13]
	v_cmp_ne_u32_e64 s[12:13], 0, v18
	v_cmp_gt_i64_e64 s[14:15], 0, v[4:5]
	v_not_b32_e32 v18, v5
	v_lshlrev_b32_e32 v5, 29, v16
	v_xor_b32_e32 v20, s13, v20
	v_xor_b32_e32 v19, s12, v19
	v_ashrrev_i32_e32 v18, 31, v18
	v_cmp_gt_i64_e64 s[12:13], 0, v[4:5]
	v_not_b32_e32 v21, v5
	v_lshlrev_b32_e32 v5, 28, v16
	v_and_b32_e32 v20, exec_hi, v20
	v_and_b32_e32 v19, exec_lo, v19
	v_xor_b32_e32 v22, s15, v18
	v_xor_b32_e32 v18, s14, v18
	v_ashrrev_i32_e32 v21, 31, v21
	v_cmp_gt_i64_e64 s[14:15], 0, v[4:5]
	v_not_b32_e32 v23, v5
	v_lshlrev_b32_e32 v5, 27, v16
	v_and_b32_e32 v20, v20, v22
	v_and_b32_e32 v18, v19, v18
	v_xor_b32_e32 v19, s13, v21
	v_xor_b32_e32 v21, s12, v21
	v_ashrrev_i32_e32 v22, 31, v23
	v_cmp_gt_i64_e64 s[12:13], 0, v[4:5]
	v_not_b32_e32 v23, v5
	v_lshlrev_b32_e32 v5, 26, v16
	v_and_b32_e32 v19, v20, v19
	v_and_b32_e32 v18, v18, v21
	;; [unrolled: 8-line block ×3, first 2 shown]
	v_xor_b32_e32 v20, s13, v22
	v_xor_b32_e32 v21, s12, v22
	v_ashrrev_i32_e32 v22, 31, v23
	v_cmp_gt_i64_e64 s[12:13], 0, v[4:5]
	v_not_b32_e32 v23, v5
	v_lshlrev_b32_e32 v5, 24, v16
	v_mul_u32_u24_e32 v17, 17, v16
	v_and_b32_e32 v16, v19, v20
	v_and_b32_e32 v18, v18, v21
	v_xor_b32_e32 v19, s15, v22
	v_xor_b32_e32 v20, s14, v22
	v_ashrrev_i32_e32 v21, 31, v23
	v_cmp_gt_i64_e64 s[14:15], 0, v[4:5]
	v_not_b32_e32 v5, v5
	v_and_b32_e32 v16, v16, v19
	v_and_b32_e32 v18, v18, v20
	v_xor_b32_e32 v19, s13, v21
	v_xor_b32_e32 v20, s12, v21
	v_ashrrev_i32_e32 v5, 31, v5
	v_and_b32_e32 v16, v16, v19
	v_and_b32_e32 v19, v18, v20
	v_mul_u32_u24_e32 v15, 5, v2
	v_lshlrev_b32_e32 v15, 2, v15
	ds_write2_b32 v15, v4, v4 offset0:16 offset1:17
	ds_write2_b32 v15, v4, v4 offset0:18 offset1:19
	ds_write_b32 v15, v4 offset:80
	s_waitcnt lgkmcnt(0)
	s_barrier
	s_waitcnt lgkmcnt(0)
	; wave barrier
	s_waitcnt vmcnt(0)
	v_mad_u64_u32 v[6:7], s[12:13], v7, v6, v[2:3]
	v_lshrrev_b32_e32 v24, 6, v6
	v_xor_b32_e32 v6, s15, v5
	v_xor_b32_e32 v5, s14, v5
	v_and_b32_e32 v7, v16, v6
	v_and_b32_e32 v6, v19, v5
	v_mbcnt_lo_u32_b32 v5, v6, 0
	v_mbcnt_hi_u32_b32 v16, v7, v5
	v_cmp_eq_u32_e64 s[12:13], 0, v16
	v_cmp_ne_u64_e64 s[14:15], 0, v[6:7]
	v_add_lshl_u32 v18, v24, v17, 2
	s_and_b64 s[14:15], s[14:15], s[12:13]
	s_and_saveexec_b64 s[12:13], s[14:15]
	s_cbranch_execz .LBB25_15
; %bb.14:
	v_bcnt_u32_b32 v5, v6, 0
	v_bcnt_u32_b32 v5, v7, v5
	ds_write_b32 v18, v5 offset:64
.LBB25_15:
	s_or_b64 exec, exec, s[12:13]
	v_lshrrev_b32_sdwa v5, s48, v8 dst_sel:DWORD dst_unused:UNUSED_PAD src0_sel:DWORD src1_sel:WORD_0
	v_and_b32_e32 v6, s33, v5
	v_mul_u32_u24_e32 v5, 17, v6
	v_add_lshl_u32 v19, v24, v5, 2
	v_and_b32_e32 v5, 1, v6
	v_add_co_u32_e64 v7, s[12:13], -1, v5
	v_addc_co_u32_e64 v20, s[12:13], 0, -1, s[12:13]
	v_cmp_ne_u32_e64 s[12:13], 0, v5
	v_xor_b32_e32 v5, s13, v20
	v_and_b32_e32 v20, exec_hi, v5
	v_lshlrev_b32_e32 v5, 30, v6
	v_xor_b32_e32 v7, s12, v7
	v_cmp_gt_i64_e64 s[12:13], 0, v[4:5]
	v_not_b32_e32 v5, v5
	v_ashrrev_i32_e32 v5, 31, v5
	v_and_b32_e32 v7, exec_lo, v7
	v_xor_b32_e32 v21, s13, v5
	v_xor_b32_e32 v5, s12, v5
	v_and_b32_e32 v7, v7, v5
	v_lshlrev_b32_e32 v5, 29, v6
	v_cmp_gt_i64_e64 s[12:13], 0, v[4:5]
	v_not_b32_e32 v5, v5
	v_ashrrev_i32_e32 v5, 31, v5
	v_and_b32_e32 v20, v20, v21
	v_xor_b32_e32 v21, s13, v5
	v_xor_b32_e32 v5, s12, v5
	v_and_b32_e32 v7, v7, v5
	v_lshlrev_b32_e32 v5, 28, v6
	v_cmp_gt_i64_e64 s[12:13], 0, v[4:5]
	v_not_b32_e32 v5, v5
	v_ashrrev_i32_e32 v5, 31, v5
	v_and_b32_e32 v20, v20, v21
	;; [unrolled: 8-line block ×5, first 2 shown]
	v_xor_b32_e32 v21, s13, v5
	v_xor_b32_e32 v5, s12, v5
	v_and_b32_e32 v7, v7, v5
	v_lshlrev_b32_e32 v5, 24, v6
	v_cmp_gt_i64_e64 s[12:13], 0, v[4:5]
	v_not_b32_e32 v4, v5
	v_ashrrev_i32_e32 v4, 31, v4
	v_xor_b32_e32 v5, s13, v4
	v_xor_b32_e32 v4, s12, v4
	; wave barrier
	ds_read_b32 v17, v19 offset:64
	v_and_b32_e32 v20, v20, v21
	v_and_b32_e32 v4, v7, v4
	;; [unrolled: 1-line block ×3, first 2 shown]
	v_mbcnt_lo_u32_b32 v6, v4, 0
	v_mbcnt_hi_u32_b32 v21, v5, v6
	v_cmp_eq_u32_e64 s[12:13], 0, v21
	v_cmp_ne_u64_e64 s[14:15], 0, v[4:5]
	s_and_b64 s[14:15], s[14:15], s[12:13]
	; wave barrier
	s_and_saveexec_b64 s[12:13], s[14:15]
	s_cbranch_execz .LBB25_17
; %bb.16:
	v_bcnt_u32_b32 v4, v4, 0
	v_bcnt_u32_b32 v4, v5, v4
	s_waitcnt lgkmcnt(0)
	v_add_u32_e32 v4, v17, v4
	ds_write_b32 v19, v4 offset:64
.LBB25_17:
	s_or_b64 exec, exec, s[12:13]
	v_lshrrev_b32_sdwa v4, s48, v11 dst_sel:DWORD dst_unused:UNUSED_PAD src0_sel:DWORD src1_sel:WORD_0
	v_and_b32_e32 v6, s33, v4
	v_and_b32_e32 v5, 1, v6
	v_add_co_u32_e64 v7, s[12:13], -1, v5
	v_addc_co_u32_e64 v23, s[12:13], 0, -1, s[12:13]
	v_cmp_ne_u32_e64 s[12:13], 0, v5
	v_mul_u32_u24_e32 v4, 17, v6
	v_xor_b32_e32 v5, s13, v23
	v_add_lshl_u32 v20, v24, v4, 2
	v_mov_b32_e32 v4, 0
	v_and_b32_e32 v23, exec_hi, v5
	v_lshlrev_b32_e32 v5, 30, v6
	v_xor_b32_e32 v7, s12, v7
	v_cmp_gt_i64_e64 s[12:13], 0, v[4:5]
	v_not_b32_e32 v5, v5
	v_ashrrev_i32_e32 v5, 31, v5
	v_and_b32_e32 v7, exec_lo, v7
	v_xor_b32_e32 v25, s13, v5
	v_xor_b32_e32 v5, s12, v5
	v_and_b32_e32 v7, v7, v5
	v_lshlrev_b32_e32 v5, 29, v6
	v_cmp_gt_i64_e64 s[12:13], 0, v[4:5]
	v_not_b32_e32 v5, v5
	v_ashrrev_i32_e32 v5, 31, v5
	v_and_b32_e32 v23, v23, v25
	v_xor_b32_e32 v25, s13, v5
	v_xor_b32_e32 v5, s12, v5
	v_and_b32_e32 v7, v7, v5
	v_lshlrev_b32_e32 v5, 28, v6
	v_cmp_gt_i64_e64 s[12:13], 0, v[4:5]
	v_not_b32_e32 v5, v5
	v_ashrrev_i32_e32 v5, 31, v5
	v_and_b32_e32 v23, v23, v25
	;; [unrolled: 8-line block ×5, first 2 shown]
	v_xor_b32_e32 v25, s13, v5
	v_xor_b32_e32 v5, s12, v5
	v_and_b32_e32 v23, v23, v25
	v_and_b32_e32 v25, v7, v5
	v_lshlrev_b32_e32 v5, 24, v6
	v_cmp_gt_i64_e64 s[12:13], 0, v[4:5]
	v_not_b32_e32 v5, v5
	v_ashrrev_i32_e32 v5, 31, v5
	v_xor_b32_e32 v6, s13, v5
	v_xor_b32_e32 v5, s12, v5
	; wave barrier
	ds_read_b32 v22, v20 offset:64
	v_and_b32_e32 v7, v23, v6
	v_and_b32_e32 v6, v25, v5
	v_mbcnt_lo_u32_b32 v5, v6, 0
	v_mbcnt_hi_u32_b32 v23, v7, v5
	v_cmp_eq_u32_e64 s[12:13], 0, v23
	v_cmp_ne_u64_e64 s[14:15], 0, v[6:7]
	s_and_b64 s[14:15], s[14:15], s[12:13]
	; wave barrier
	s_and_saveexec_b64 s[12:13], s[14:15]
	s_cbranch_execz .LBB25_19
; %bb.18:
	v_bcnt_u32_b32 v5, v6, 0
	v_bcnt_u32_b32 v5, v7, v5
	s_waitcnt lgkmcnt(0)
	v_add_u32_e32 v5, v22, v5
	ds_write_b32 v20, v5 offset:64
.LBB25_19:
	s_or_b64 exec, exec, s[12:13]
	v_lshrrev_b32_sdwa v5, s48, v10 dst_sel:DWORD dst_unused:UNUSED_PAD src0_sel:DWORD src1_sel:WORD_0
	v_and_b32_e32 v6, s33, v5
	v_mul_u32_u24_e32 v5, 17, v6
	v_add_lshl_u32 v25, v24, v5, 2
	v_and_b32_e32 v5, 1, v6
	v_add_co_u32_e64 v7, s[12:13], -1, v5
	v_addc_co_u32_e64 v26, s[12:13], 0, -1, s[12:13]
	v_cmp_ne_u32_e64 s[12:13], 0, v5
	v_xor_b32_e32 v5, s13, v26
	v_and_b32_e32 v26, exec_hi, v5
	v_lshlrev_b32_e32 v5, 30, v6
	v_xor_b32_e32 v7, s12, v7
	v_cmp_gt_i64_e64 s[12:13], 0, v[4:5]
	v_not_b32_e32 v5, v5
	v_ashrrev_i32_e32 v5, 31, v5
	v_and_b32_e32 v7, exec_lo, v7
	v_xor_b32_e32 v28, s13, v5
	v_xor_b32_e32 v5, s12, v5
	v_and_b32_e32 v7, v7, v5
	v_lshlrev_b32_e32 v5, 29, v6
	v_cmp_gt_i64_e64 s[12:13], 0, v[4:5]
	v_not_b32_e32 v5, v5
	v_ashrrev_i32_e32 v5, 31, v5
	v_and_b32_e32 v26, v26, v28
	v_xor_b32_e32 v28, s13, v5
	v_xor_b32_e32 v5, s12, v5
	v_and_b32_e32 v7, v7, v5
	v_lshlrev_b32_e32 v5, 28, v6
	v_cmp_gt_i64_e64 s[12:13], 0, v[4:5]
	v_not_b32_e32 v5, v5
	v_ashrrev_i32_e32 v5, 31, v5
	v_and_b32_e32 v26, v26, v28
	;; [unrolled: 8-line block ×5, first 2 shown]
	v_xor_b32_e32 v28, s13, v5
	v_xor_b32_e32 v5, s12, v5
	v_and_b32_e32 v7, v7, v5
	v_lshlrev_b32_e32 v5, 24, v6
	v_cmp_gt_i64_e64 s[12:13], 0, v[4:5]
	v_not_b32_e32 v4, v5
	v_ashrrev_i32_e32 v4, 31, v4
	v_xor_b32_e32 v5, s13, v4
	v_xor_b32_e32 v4, s12, v4
	; wave barrier
	ds_read_b32 v27, v25 offset:64
	v_and_b32_e32 v26, v26, v28
	v_and_b32_e32 v4, v7, v4
	;; [unrolled: 1-line block ×3, first 2 shown]
	v_mbcnt_lo_u32_b32 v6, v4, 0
	v_mbcnt_hi_u32_b32 v28, v5, v6
	v_cmp_eq_u32_e64 s[12:13], 0, v28
	v_cmp_ne_u64_e64 s[14:15], 0, v[4:5]
	s_and_b64 s[14:15], s[14:15], s[12:13]
	; wave barrier
	s_and_saveexec_b64 s[12:13], s[14:15]
	s_cbranch_execz .LBB25_21
; %bb.20:
	v_bcnt_u32_b32 v4, v4, 0
	v_bcnt_u32_b32 v4, v5, v4
	s_waitcnt lgkmcnt(0)
	v_add_u32_e32 v4, v27, v4
	ds_write_b32 v25, v4 offset:64
.LBB25_21:
	s_or_b64 exec, exec, s[12:13]
	v_lshrrev_b32_sdwa v4, s48, v14 dst_sel:DWORD dst_unused:UNUSED_PAD src0_sel:DWORD src1_sel:WORD_0
	v_and_b32_e32 v6, s33, v4
	v_and_b32_e32 v5, 1, v6
	v_add_co_u32_e64 v7, s[12:13], -1, v5
	v_addc_co_u32_e64 v30, s[12:13], 0, -1, s[12:13]
	v_cmp_ne_u32_e64 s[12:13], 0, v5
	v_mul_u32_u24_e32 v4, 17, v6
	v_xor_b32_e32 v5, s13, v30
	v_add_lshl_u32 v26, v24, v4, 2
	v_mov_b32_e32 v4, 0
	v_and_b32_e32 v30, exec_hi, v5
	v_lshlrev_b32_e32 v5, 30, v6
	v_xor_b32_e32 v7, s12, v7
	v_cmp_gt_i64_e64 s[12:13], 0, v[4:5]
	v_not_b32_e32 v5, v5
	v_ashrrev_i32_e32 v5, 31, v5
	v_and_b32_e32 v7, exec_lo, v7
	v_xor_b32_e32 v31, s13, v5
	v_xor_b32_e32 v5, s12, v5
	v_and_b32_e32 v7, v7, v5
	v_lshlrev_b32_e32 v5, 29, v6
	v_cmp_gt_i64_e64 s[12:13], 0, v[4:5]
	v_not_b32_e32 v5, v5
	v_ashrrev_i32_e32 v5, 31, v5
	v_and_b32_e32 v30, v30, v31
	v_xor_b32_e32 v31, s13, v5
	v_xor_b32_e32 v5, s12, v5
	v_and_b32_e32 v7, v7, v5
	v_lshlrev_b32_e32 v5, 28, v6
	v_cmp_gt_i64_e64 s[12:13], 0, v[4:5]
	v_not_b32_e32 v5, v5
	v_ashrrev_i32_e32 v5, 31, v5
	v_and_b32_e32 v30, v30, v31
	;; [unrolled: 8-line block ×5, first 2 shown]
	v_xor_b32_e32 v31, s13, v5
	v_xor_b32_e32 v5, s12, v5
	v_and_b32_e32 v30, v30, v31
	v_and_b32_e32 v31, v7, v5
	v_lshlrev_b32_e32 v5, 24, v6
	v_cmp_gt_i64_e64 s[12:13], 0, v[4:5]
	v_not_b32_e32 v5, v5
	v_ashrrev_i32_e32 v5, 31, v5
	v_xor_b32_e32 v6, s13, v5
	v_xor_b32_e32 v5, s12, v5
	; wave barrier
	ds_read_b32 v29, v26 offset:64
	v_and_b32_e32 v7, v30, v6
	v_and_b32_e32 v6, v31, v5
	v_mbcnt_lo_u32_b32 v5, v6, 0
	v_mbcnt_hi_u32_b32 v30, v7, v5
	v_cmp_eq_u32_e64 s[12:13], 0, v30
	v_cmp_ne_u64_e64 s[14:15], 0, v[6:7]
	s_and_b64 s[14:15], s[14:15], s[12:13]
	; wave barrier
	s_and_saveexec_b64 s[12:13], s[14:15]
	s_cbranch_execz .LBB25_23
; %bb.22:
	v_bcnt_u32_b32 v5, v6, 0
	v_bcnt_u32_b32 v5, v7, v5
	s_waitcnt lgkmcnt(0)
	v_add_u32_e32 v5, v29, v5
	ds_write_b32 v26, v5 offset:64
.LBB25_23:
	s_or_b64 exec, exec, s[12:13]
	v_lshrrev_b32_sdwa v5, s48, v13 dst_sel:DWORD dst_unused:UNUSED_PAD src0_sel:DWORD src1_sel:WORD_0
	v_and_b32_e32 v6, s33, v5
	v_mul_u32_u24_e32 v5, 17, v6
	v_add_lshl_u32 v24, v24, v5, 2
	v_and_b32_e32 v5, 1, v6
	v_add_co_u32_e64 v7, s[12:13], -1, v5
	v_addc_co_u32_e64 v33, s[12:13], 0, -1, s[12:13]
	v_cmp_ne_u32_e64 s[12:13], 0, v5
	v_xor_b32_e32 v5, s13, v33
	v_and_b32_e32 v33, exec_hi, v5
	v_lshlrev_b32_e32 v5, 30, v6
	v_xor_b32_e32 v7, s12, v7
	v_cmp_gt_i64_e64 s[12:13], 0, v[4:5]
	v_not_b32_e32 v5, v5
	v_ashrrev_i32_e32 v5, 31, v5
	v_and_b32_e32 v7, exec_lo, v7
	v_xor_b32_e32 v34, s13, v5
	v_xor_b32_e32 v5, s12, v5
	v_and_b32_e32 v7, v7, v5
	v_lshlrev_b32_e32 v5, 29, v6
	v_cmp_gt_i64_e64 s[12:13], 0, v[4:5]
	v_not_b32_e32 v5, v5
	v_ashrrev_i32_e32 v5, 31, v5
	v_and_b32_e32 v33, v33, v34
	v_xor_b32_e32 v34, s13, v5
	v_xor_b32_e32 v5, s12, v5
	v_and_b32_e32 v7, v7, v5
	v_lshlrev_b32_e32 v5, 28, v6
	v_cmp_gt_i64_e64 s[12:13], 0, v[4:5]
	v_not_b32_e32 v5, v5
	v_ashrrev_i32_e32 v5, 31, v5
	v_and_b32_e32 v33, v33, v34
	;; [unrolled: 8-line block ×5, first 2 shown]
	v_xor_b32_e32 v34, s13, v5
	v_xor_b32_e32 v5, s12, v5
	v_and_b32_e32 v7, v7, v5
	v_lshlrev_b32_e32 v5, 24, v6
	v_cmp_gt_i64_e64 s[12:13], 0, v[4:5]
	v_not_b32_e32 v4, v5
	v_ashrrev_i32_e32 v4, 31, v4
	v_xor_b32_e32 v5, s13, v4
	v_xor_b32_e32 v4, s12, v4
	; wave barrier
	ds_read_b32 v31, v24 offset:64
	v_and_b32_e32 v33, v33, v34
	v_and_b32_e32 v4, v7, v4
	;; [unrolled: 1-line block ×3, first 2 shown]
	v_mbcnt_lo_u32_b32 v6, v4, 0
	v_mbcnt_hi_u32_b32 v33, v5, v6
	v_cmp_eq_u32_e64 s[12:13], 0, v33
	v_cmp_ne_u64_e64 s[14:15], 0, v[4:5]
	v_add_u32_e32 v32, 64, v15
	s_and_b64 s[14:15], s[14:15], s[12:13]
	; wave barrier
	s_and_saveexec_b64 s[12:13], s[14:15]
	s_cbranch_execz .LBB25_25
; %bb.24:
	v_bcnt_u32_b32 v4, v4, 0
	v_bcnt_u32_b32 v4, v5, v4
	s_waitcnt lgkmcnt(0)
	v_add_u32_e32 v4, v31, v4
	ds_write_b32 v24, v4 offset:64
.LBB25_25:
	s_or_b64 exec, exec, s[12:13]
	; wave barrier
	s_waitcnt lgkmcnt(0)
	s_barrier
	ds_read2_b32 v[6:7], v15 offset0:16 offset1:17
	ds_read2_b32 v[4:5], v32 offset0:2 offset1:3
	ds_read_b32 v34, v32 offset:16
	v_cmp_lt_u32_e64 s[20:21], 31, v12
	s_waitcnt lgkmcnt(1)
	v_add3_u32 v35, v7, v6, v4
	s_waitcnt lgkmcnt(0)
	v_add3_u32 v34, v35, v5, v34
	v_and_b32_e32 v35, 15, v12
	v_cmp_eq_u32_e64 s[12:13], 0, v35
	v_mov_b32_dpp v36, v34 row_shr:1 row_mask:0xf bank_mask:0xf
	v_cndmask_b32_e64 v36, v36, 0, s[12:13]
	v_add_u32_e32 v34, v36, v34
	v_cmp_lt_u32_e64 s[14:15], 1, v35
	v_cmp_lt_u32_e64 s[16:17], 3, v35
	v_mov_b32_dpp v36, v34 row_shr:2 row_mask:0xf bank_mask:0xf
	v_cndmask_b32_e64 v36, 0, v36, s[14:15]
	v_add_u32_e32 v34, v34, v36
	v_cmp_lt_u32_e64 s[18:19], 7, v35
	s_nop 0
	v_mov_b32_dpp v36, v34 row_shr:4 row_mask:0xf bank_mask:0xf
	v_cndmask_b32_e64 v36, 0, v36, s[16:17]
	v_add_u32_e32 v34, v34, v36
	s_nop 1
	v_mov_b32_dpp v36, v34 row_shr:8 row_mask:0xf bank_mask:0xf
	v_cndmask_b32_e64 v35, 0, v36, s[18:19]
	v_add_u32_e32 v34, v34, v35
	v_bfe_i32 v36, v12, 4, 1
	s_nop 0
	v_mov_b32_dpp v35, v34 row_bcast:15 row_mask:0xf bank_mask:0xf
	v_and_b32_e32 v35, v36, v35
	v_add_u32_e32 v34, v34, v35
	v_and_b32_e32 v36, 63, v2
	s_nop 0
	v_mov_b32_dpp v35, v34 row_bcast:31 row_mask:0xf bank_mask:0xf
	v_cndmask_b32_e64 v35, 0, v35, s[20:21]
	v_add_u32_e32 v34, v34, v35
	v_lshrrev_b32_e32 v35, 6, v2
	v_cmp_eq_u32_e64 s[20:21], 63, v36
	s_and_saveexec_b64 s[22:23], s[20:21]
	s_cbranch_execz .LBB25_27
; %bb.26:
	v_lshlrev_b32_e32 v36, 2, v35
	ds_write_b32 v36, v34
.LBB25_27:
	s_or_b64 exec, exec, s[22:23]
	v_cmp_gt_u32_e64 s[20:21], 16, v2
	s_waitcnt lgkmcnt(0)
	s_barrier
	s_and_saveexec_b64 s[22:23], s[20:21]
	s_cbranch_execz .LBB25_29
; %bb.28:
	v_lshlrev_b32_e32 v36, 2, v2
	ds_read_b32 v37, v36
	s_waitcnt lgkmcnt(0)
	s_nop 0
	v_mov_b32_dpp v38, v37 row_shr:1 row_mask:0xf bank_mask:0xf
	v_cndmask_b32_e64 v38, v38, 0, s[12:13]
	v_add_u32_e32 v37, v38, v37
	s_nop 1
	v_mov_b32_dpp v38, v37 row_shr:2 row_mask:0xf bank_mask:0xf
	v_cndmask_b32_e64 v38, 0, v38, s[14:15]
	v_add_u32_e32 v37, v37, v38
	;; [unrolled: 4-line block ×4, first 2 shown]
	ds_write_b32 v36, v37
.LBB25_29:
	s_or_b64 exec, exec, s[22:23]
	v_cmp_lt_u32_e64 s[12:13], 63, v2
	v_mov_b32_e32 v36, 0
	s_waitcnt lgkmcnt(0)
	s_barrier
	s_and_saveexec_b64 s[14:15], s[12:13]
	s_cbranch_execz .LBB25_31
; %bb.30:
	v_lshl_add_u32 v35, v35, 2, -4
	ds_read_b32 v36, v35
.LBB25_31:
	s_or_b64 exec, exec, s[14:15]
	v_add_u32_e32 v35, -1, v12
	v_and_b32_e32 v37, 64, v12
	v_cmp_lt_i32_e64 s[12:13], v35, v37
	v_cndmask_b32_e64 v35, v35, v12, s[12:13]
	s_waitcnt lgkmcnt(0)
	v_add_u32_e32 v34, v36, v34
	v_lshlrev_b32_e32 v35, 2, v35
	ds_bpermute_b32 v34, v35, v34
	v_cmp_eq_u32_e64 s[12:13], 0, v12
	s_waitcnt lgkmcnt(0)
	v_cndmask_b32_e64 v34, v34, v36, s[12:13]
	v_cmp_ne_u32_e64 s[12:13], 0, v2
	v_cndmask_b32_e64 v34, 0, v34, s[12:13]
	v_add_u32_e32 v6, v34, v6
	v_add_u32_e32 v7, v6, v7
	;; [unrolled: 1-line block ×4, first 2 shown]
	ds_write2_b32 v15, v34, v6 offset0:16 offset1:17
	ds_write2_b32 v32, v7, v4 offset0:2 offset1:3
	ds_write_b32 v32, v5 offset:16
	s_waitcnt lgkmcnt(0)
	s_barrier
	ds_read_b32 v6, v18 offset:64
	ds_read_b32 v7, v19 offset:64
	;; [unrolled: 1-line block ×6, first 2 shown]
	s_movk_i32 s12, 0x100
	v_cmp_gt_u32_e64 s[12:13], s12, v2
	v_pk_mov_b32 v[4:5], 0, 0
                                        ; implicit-def: $vgpr20
	s_and_saveexec_b64 s[16:17], s[12:13]
	s_cbranch_execz .LBB25_35
; %bb.32:
	v_mul_u32_u24_e32 v4, 17, v2
	v_lshlrev_b32_e32 v20, 2, v4
	ds_read_b32 v4, v20 offset:64
	s_movk_i32 s14, 0xff
	v_cmp_ne_u32_e64 s[14:15], s14, v2
	v_mov_b32_e32 v5, 0x1800
	s_and_saveexec_b64 s[18:19], s[14:15]
	s_cbranch_execz .LBB25_34
; %bb.33:
	ds_read_b32 v5, v20 offset:132
.LBB25_34:
	s_or_b64 exec, exec, s[18:19]
	s_waitcnt lgkmcnt(0)
	v_sub_u32_e32 v20, v5, v4
	v_mov_b32_e32 v5, 0
.LBB25_35:
	s_or_b64 exec, exec, s[16:17]
	s_waitcnt lgkmcnt(5)
	v_add_u32_e32 v26, v6, v16
	s_waitcnt lgkmcnt(4)
	v_add3_u32 v25, v21, v17, v7
	v_lshlrev_b32_e32 v6, 1, v26
	s_waitcnt lgkmcnt(3)
	v_add3_u32 v24, v23, v22, v15
	s_waitcnt lgkmcnt(0)
	s_barrier
	ds_write_b16 v6, v9 offset:2048
	v_lshlrev_b32_e32 v6, 1, v25
	v_add3_u32 v23, v28, v27, v18
	ds_write_b16 v6, v8 offset:2048
	v_lshlrev_b32_e32 v6, 1, v24
	v_add3_u32 v22, v30, v29, v19
	;; [unrolled: 3-line block ×3, first 2 shown]
	ds_write_b16 v6, v10 offset:2048
	v_lshlrev_b32_e32 v6, 1, v22
	ds_write_b16 v6, v14 offset:2048
	v_lshlrev_b32_e32 v6, 1, v21
	ds_write_b16 v6, v13 offset:2048
	s_waitcnt lgkmcnt(0)
	s_barrier
	s_and_saveexec_b64 s[16:17], s[12:13]
	s_cbranch_execz .LBB25_45
; %bb.36:
	v_lshl_or_b32 v6, s6, 8, v2
	v_mov_b32_e32 v7, 0
	v_lshlrev_b64 v[8:9], 2, v[6:7]
	v_mov_b32_e32 v13, s35
	v_add_co_u32_e64 v8, s[14:15], s34, v8
	v_addc_co_u32_e64 v9, s[14:15], v13, v9, s[14:15]
	v_or_b32_e32 v6, 2.0, v20
	s_mov_b64 s[18:19], 0
	s_brev_b32 s24, 1
	s_mov_b32 s25, s6
	v_mov_b32_e32 v14, 0
	global_store_dword v[8:9], v6, off
                                        ; implicit-def: $sgpr14_sgpr15
	s_branch .LBB25_38
.LBB25_37:                              ;   in Loop: Header=BB25_38 Depth=1
	s_or_b64 exec, exec, s[20:21]
	v_and_b32_e32 v10, 0x3fffffff, v15
	v_add_u32_e32 v14, v10, v14
	v_cmp_eq_u32_e64 s[14:15], s24, v6
	s_and_b64 s[20:21], exec, s[14:15]
	s_or_b64 s[18:19], s[20:21], s[18:19]
	s_andn2_b64 exec, exec, s[18:19]
	s_cbranch_execz .LBB25_44
.LBB25_38:                              ; =>This Loop Header: Depth=1
                                        ;     Child Loop BB25_41 Depth 2
	s_or_b64 s[14:15], s[14:15], exec
	s_cmp_eq_u32 s25, 0
	s_cbranch_scc1 .LBB25_43
; %bb.39:                               ;   in Loop: Header=BB25_38 Depth=1
	s_add_i32 s25, s25, -1
	v_lshl_or_b32 v6, s25, 8, v2
	v_lshlrev_b64 v[10:11], 2, v[6:7]
	v_add_co_u32_e64 v10, s[14:15], s34, v10
	v_addc_co_u32_e64 v11, s[14:15], v13, v11, s[14:15]
	global_load_dword v15, v[10:11], off glc
	s_waitcnt vmcnt(0)
	v_and_b32_e32 v6, -2.0, v15
	v_cmp_eq_u32_e64 s[14:15], 0, v6
	s_and_saveexec_b64 s[20:21], s[14:15]
	s_cbranch_execz .LBB25_37
; %bb.40:                               ;   in Loop: Header=BB25_38 Depth=1
	s_mov_b64 s[22:23], 0
.LBB25_41:                              ;   Parent Loop BB25_38 Depth=1
                                        ; =>  This Inner Loop Header: Depth=2
	global_load_dword v15, v[10:11], off glc
	s_waitcnt vmcnt(0)
	v_and_b32_e32 v6, -2.0, v15
	v_cmp_ne_u32_e64 s[14:15], 0, v6
	s_or_b64 s[22:23], s[14:15], s[22:23]
	s_andn2_b64 exec, exec, s[22:23]
	s_cbranch_execnz .LBB25_41
; %bb.42:                               ;   in Loop: Header=BB25_38 Depth=1
	s_or_b64 exec, exec, s[22:23]
	s_branch .LBB25_37
.LBB25_43:                              ;   in Loop: Header=BB25_38 Depth=1
                                        ; implicit-def: $sgpr25
	s_and_b64 s[20:21], exec, s[14:15]
	s_or_b64 s[18:19], s[20:21], s[18:19]
	s_andn2_b64 exec, exec, s[18:19]
	s_cbranch_execnz .LBB25_38
.LBB25_44:
	s_or_b64 exec, exec, s[18:19]
	v_add_u32_e32 v6, v14, v20
	v_or_b32_e32 v6, 0x80000000, v6
	global_store_dword v[8:9], v6, off
	v_lshlrev_b32_e32 v8, 3, v2
	global_load_dwordx2 v[6:7], v8, s[44:45]
	v_sub_co_u32_e64 v9, s[14:15], v14, v4
	v_subb_co_u32_e64 v10, s[14:15], 0, v5, s[14:15]
	s_waitcnt vmcnt(0)
	v_add_co_u32_e64 v6, s[14:15], v9, v6
	v_addc_co_u32_e64 v7, s[14:15], v10, v7, s[14:15]
	ds_write_b64 v8, v[6:7]
.LBB25_45:
	s_or_b64 exec, exec, s[16:17]
	v_cmp_gt_u32_e64 s[14:15], s50, v2
	v_lshlrev_b32_e32 v32, 1, v2
	s_waitcnt lgkmcnt(0)
	s_barrier
	s_and_saveexec_b64 s[18:19], s[14:15]
	s_cbranch_execz .LBB25_47
; %bb.46:
	ds_read_u16 v8, v32 offset:2048
	v_mov_b32_e32 v9, s39
	s_waitcnt lgkmcnt(0)
	v_lshrrev_b32_sdwa v6, s48, v8 dst_sel:DWORD dst_unused:UNUSED_PAD src0_sel:DWORD src1_sel:WORD_0
	v_and_b32_e32 v6, s33, v6
	v_lshlrev_b32_e32 v6, 3, v6
	ds_read_b64 v[6:7], v6
	s_waitcnt lgkmcnt(0)
	v_lshlrev_b64 v[6:7], 1, v[6:7]
	v_add_co_u32_e64 v6, s[16:17], s38, v6
	v_addc_co_u32_e64 v7, s[16:17], v9, v7, s[16:17]
	v_add_co_u32_e64 v6, s[16:17], v6, v32
	v_addc_co_u32_e64 v7, s[16:17], 0, v7, s[16:17]
	global_store_short v[6:7], v8, off
.LBB25_47:
	s_or_b64 exec, exec, s[18:19]
	v_or_b32_e32 v27, 0x400, v2
	v_cmp_gt_u32_e64 s[16:17], s50, v27
	s_and_saveexec_b64 s[20:21], s[16:17]
	s_cbranch_execz .LBB25_49
; %bb.48:
	ds_read_u16 v8, v32 offset:4096
	v_mov_b32_e32 v9, s39
	s_waitcnt lgkmcnt(0)
	v_lshrrev_b32_sdwa v6, s48, v8 dst_sel:DWORD dst_unused:UNUSED_PAD src0_sel:DWORD src1_sel:WORD_0
	v_and_b32_e32 v6, s33, v6
	v_lshlrev_b32_e32 v6, 3, v6
	ds_read_b64 v[6:7], v6
	s_waitcnt lgkmcnt(0)
	v_lshlrev_b64 v[6:7], 1, v[6:7]
	v_add_co_u32_e64 v6, s[18:19], s38, v6
	v_addc_co_u32_e64 v7, s[18:19], v9, v7, s[18:19]
	v_add_co_u32_e64 v6, s[18:19], v6, v32
	v_addc_co_u32_e64 v7, s[18:19], 0, v7, s[18:19]
	global_store_short v[6:7], v8, off offset:2048
.LBB25_49:
	s_or_b64 exec, exec, s[20:21]
	v_or_b32_e32 v28, 0x800, v2
	v_cmp_gt_u32_e64 s[18:19], s50, v28
	s_and_saveexec_b64 s[22:23], s[18:19]
	s_cbranch_execz .LBB25_51
; %bb.50:
	ds_read_u16 v8, v32 offset:6144
	v_mov_b32_e32 v9, s39
	v_lshlrev_b32_e32 v10, 1, v28
	s_waitcnt lgkmcnt(0)
	v_lshrrev_b32_sdwa v6, s48, v8 dst_sel:DWORD dst_unused:UNUSED_PAD src0_sel:DWORD src1_sel:WORD_0
	v_and_b32_e32 v6, s33, v6
	v_lshlrev_b32_e32 v6, 3, v6
	ds_read_b64 v[6:7], v6
	s_waitcnt lgkmcnt(0)
	v_lshlrev_b64 v[6:7], 1, v[6:7]
	v_add_co_u32_e64 v6, s[20:21], s38, v6
	v_addc_co_u32_e64 v7, s[20:21], v9, v7, s[20:21]
	v_add_co_u32_e64 v6, s[20:21], v6, v10
	v_addc_co_u32_e64 v7, s[20:21], 0, v7, s[20:21]
	global_store_short v[6:7], v8, off
.LBB25_51:
	s_or_b64 exec, exec, s[22:23]
	v_or_b32_e32 v29, 0xc00, v2
	v_cmp_gt_u32_e64 s[20:21], s50, v29
	s_and_saveexec_b64 s[24:25], s[20:21]
	s_cbranch_execz .LBB25_53
; %bb.52:
	ds_read_u16 v8, v32 offset:8192
	v_mov_b32_e32 v9, s39
	v_lshlrev_b32_e32 v10, 1, v29
	s_waitcnt lgkmcnt(0)
	v_lshrrev_b32_sdwa v6, s48, v8 dst_sel:DWORD dst_unused:UNUSED_PAD src0_sel:DWORD src1_sel:WORD_0
	v_and_b32_e32 v6, s33, v6
	v_lshlrev_b32_e32 v6, 3, v6
	ds_read_b64 v[6:7], v6
	s_waitcnt lgkmcnt(0)
	v_lshlrev_b64 v[6:7], 1, v[6:7]
	v_add_co_u32_e64 v6, s[22:23], s38, v6
	v_addc_co_u32_e64 v7, s[22:23], v9, v7, s[22:23]
	v_add_co_u32_e64 v6, s[22:23], v6, v10
	v_addc_co_u32_e64 v7, s[22:23], 0, v7, s[22:23]
	global_store_short v[6:7], v8, off
.LBB25_53:
	;; [unrolled: 22-line block ×4, first 2 shown]
	s_or_b64 exec, exec, s[50:51]
	s_lshl_b64 s[28:29], s[30:31], 3
	s_add_u32 s28, s40, s28
	s_addc_u32 s29, s41, s29
	v_lshlrev_b32_e32 v6, 3, v12
	v_mov_b32_e32 v7, s29
	v_add_co_u32_e64 v6, s[28:29], s28, v6
	v_addc_co_u32_e64 v7, s[28:29], 0, v7, s[28:29]
	v_lshlrev_b32_e32 v3, 3, v3
	v_add_co_u32_e64 v18, s[28:29], v6, v3
	v_addc_co_u32_e64 v19, s[28:29], 0, v7, s[28:29]
                                        ; implicit-def: $vgpr6_vgpr7
	s_and_saveexec_b64 s[28:29], vcc
	s_xor_b64 s[28:29], exec, s[28:29]
	s_cbranch_execnz .LBB25_127
; %bb.58:
	s_or_b64 exec, exec, s[28:29]
                                        ; implicit-def: $vgpr8_vgpr9
	s_and_saveexec_b64 s[28:29], s[0:1]
	s_cbranch_execnz .LBB25_128
.LBB25_59:
	s_or_b64 exec, exec, s[28:29]
                                        ; implicit-def: $vgpr10_vgpr11
	s_and_saveexec_b64 s[0:1], s[2:3]
	s_cbranch_execnz .LBB25_129
.LBB25_60:
	s_or_b64 exec, exec, s[0:1]
                                        ; implicit-def: $vgpr12_vgpr13
	s_and_saveexec_b64 s[0:1], s[26:27]
	s_cbranch_execnz .LBB25_130
.LBB25_61:
	s_or_b64 exec, exec, s[0:1]
                                        ; implicit-def: $vgpr14_vgpr15
	s_and_saveexec_b64 s[0:1], s[8:9]
	s_cbranch_execnz .LBB25_131
.LBB25_62:
	s_or_b64 exec, exec, s[0:1]
                                        ; implicit-def: $vgpr16_vgpr17
	s_and_saveexec_b64 s[0:1], s[10:11]
	s_cbranch_execz .LBB25_64
.LBB25_63:
	global_load_dwordx2 v[16:17], v[18:19], off offset:2560
.LBB25_64:
	s_or_b64 exec, exec, s[0:1]
	v_mov_b32_e32 v33, 0
	v_mov_b32_e32 v35, 0
	s_and_saveexec_b64 s[0:1], s[14:15]
	s_cbranch_execz .LBB25_66
; %bb.65:
	ds_read_u16 v3, v32 offset:2048
	s_waitcnt lgkmcnt(0)
	v_lshrrev_b32_e32 v3, s48, v3
	v_and_b32_e32 v35, s33, v3
.LBB25_66:
	s_or_b64 exec, exec, s[0:1]
	s_and_saveexec_b64 s[0:1], s[16:17]
	s_cbranch_execz .LBB25_68
; %bb.67:
	ds_read_u16 v3, v32 offset:4096
	s_waitcnt lgkmcnt(0)
	v_lshrrev_b32_e32 v3, s48, v3
	v_and_b32_e32 v33, s33, v3
.LBB25_68:
	s_or_b64 exec, exec, s[0:1]
	v_mov_b32_e32 v18, 0
	v_mov_b32_e32 v34, 0
	s_and_saveexec_b64 s[0:1], s[18:19]
	s_cbranch_execz .LBB25_70
; %bb.69:
	ds_read_u16 v3, v32 offset:6144
	s_waitcnt lgkmcnt(0)
	v_lshrrev_b32_e32 v3, s48, v3
	v_and_b32_e32 v34, s33, v3
.LBB25_70:
	s_or_b64 exec, exec, s[0:1]
	s_and_saveexec_b64 s[0:1], s[20:21]
	s_cbranch_execz .LBB25_72
; %bb.71:
	ds_read_u16 v3, v32 offset:8192
	s_waitcnt lgkmcnt(0)
	v_lshrrev_b32_e32 v3, s48, v3
	v_and_b32_e32 v18, s33, v3
.LBB25_72:
	;; [unrolled: 20-line block ×3, first 2 shown]
	s_or_b64 exec, exec, s[0:1]
	v_lshlrev_b32_e32 v26, 3, v26
	s_barrier
	s_waitcnt vmcnt(0)
	ds_write_b64 v26, v[6:7] offset:2048
	v_lshlrev_b32_e32 v6, 3, v25
	ds_write_b64 v6, v[8:9] offset:2048
	v_lshlrev_b32_e32 v6, 3, v24
	;; [unrolled: 2-line block ×6, first 2 shown]
	s_waitcnt lgkmcnt(0)
	s_barrier
	s_and_saveexec_b64 s[0:1], s[14:15]
	s_cbranch_execnz .LBB25_132
; %bb.77:
	s_or_b64 exec, exec, s[0:1]
	s_and_saveexec_b64 s[0:1], s[16:17]
	s_cbranch_execnz .LBB25_133
.LBB25_78:
	s_or_b64 exec, exec, s[0:1]
	s_and_saveexec_b64 s[0:1], s[18:19]
	s_cbranch_execnz .LBB25_134
.LBB25_79:
	s_or_b64 exec, exec, s[0:1]
	s_and_saveexec_b64 s[0:1], s[20:21]
	s_cbranch_execnz .LBB25_135
.LBB25_80:
	s_or_b64 exec, exec, s[0:1]
	s_and_saveexec_b64 s[0:1], s[22:23]
	s_cbranch_execnz .LBB25_136
.LBB25_81:
	s_or_b64 exec, exec, s[0:1]
	s_and_saveexec_b64 s[0:1], s[24:25]
	s_cbranch_execz .LBB25_83
.LBB25_82:
	v_lshlrev_b32_e32 v3, 3, v3
	ds_read_b64 v[8:9], v3
	ds_read_b64 v[6:7], v6 offset:43008
	v_mov_b32_e32 v3, s43
	s_waitcnt lgkmcnt(1)
	v_lshlrev_b64 v[8:9], 3, v[8:9]
	v_add_co_u32_e32 v8, vcc, s42, v8
	v_addc_co_u32_e32 v3, vcc, v3, v9, vcc
	v_lshlrev_b32_e32 v9, 3, v31
	v_add_co_u32_e32 v8, vcc, v8, v9
	v_addc_co_u32_e32 v9, vcc, 0, v3, vcc
	s_waitcnt lgkmcnt(0)
	global_store_dwordx2 v[8:9], v[6:7], off
.LBB25_83:
	s_or_b64 exec, exec, s[0:1]
	s_add_i32 s7, s7, -1
	s_cmp_eq_u32 s6, s7
	s_cselect_b64 s[0:1], -1, 0
	s_and_b64 s[2:3], s[12:13], s[0:1]
	s_mov_b64 s[0:1], 0
	s_mov_b64 s[10:11], 0
                                        ; implicit-def: $vgpr6_vgpr7
	s_and_saveexec_b64 s[8:9], s[2:3]
	s_xor_b64 s[2:3], exec, s[8:9]
; %bb.84:
	v_add_co_u32_e32 v6, vcc, v4, v20
	s_mov_b64 s[10:11], exec
	v_mov_b32_e32 v3, 0
	v_addc_co_u32_e32 v7, vcc, 0, v5, vcc
; %bb.85:
	s_or_b64 exec, exec, s[2:3]
	s_and_b64 vcc, exec, s[0:1]
	s_cbranch_vccnz .LBB25_87
	s_branch .LBB25_124
.LBB25_86:
	s_mov_b64 s[10:11], 0
                                        ; implicit-def: $vgpr6_vgpr7
                                        ; implicit-def: $vgpr2_vgpr3
	s_cbranch_execz .LBB25_124
.LBB25_87:
	v_and_b32_e32 v2, 0x3ff, v0
	s_mov_b32 s31, 0
	s_lshl_b64 s[0:1], s[30:31], 1
	v_mbcnt_hi_u32_b32 v11, -1, v1
	v_and_b32_e32 v1, 0x3c0, v2
	s_add_u32 s0, s36, s0
	v_mul_u32_u24_e32 v10, 6, v1
	v_lshlrev_b32_e32 v1, 1, v11
	v_add_co_u32_e32 v1, vcc, s0, v1
	s_load_dword s7, s[4:5], 0x50
	s_load_dword s0, s[4:5], 0x5c
	s_addc_u32 s1, s37, s1
	v_mov_b32_e32 v3, s1
	s_add_u32 s1, s4, 0x50
	v_addc_co_u32_e32 v3, vcc, 0, v3, vcc
	v_lshlrev_b32_e32 v5, 1, v10
	s_addc_u32 s2, s5, 0
	s_waitcnt lgkmcnt(0)
	s_lshr_b32 s3, s0, 16
	v_add_co_u32_e32 v14, vcc, v1, v5
	s_cmp_lt_u32 s6, s7
	v_addc_co_u32_e32 v15, vcc, 0, v3, vcc
	s_cselect_b32 s0, 12, 18
	global_load_ushort v3, v[14:15], off
	s_add_u32 s0, s1, s0
	v_mov_b32_e32 v4, 0
	s_addc_u32 s1, s2, 0
	global_load_ushort v1, v4, s[0:1]
	v_mul_u32_u24_e32 v6, 5, v2
	v_lshlrev_b32_e32 v13, 2, v6
	ds_write2_b32 v13, v4, v4 offset0:16 offset1:17
	ds_write2_b32 v13, v4, v4 offset0:18 offset1:19
	ds_write_b32 v13, v4 offset:80
	global_load_ushort v12, v[14:15], off offset:128
	global_load_ushort v9, v[14:15], off offset:256
	;; [unrolled: 1-line block ×5, first 2 shown]
	v_bfe_u32 v5, v0, 10, 10
	v_bfe_u32 v0, v0, 20, 10
	s_lshl_b32 s0, -1, s49
	v_mad_u32_u24 v0, v0, s3, v5
	s_not_b32 s14, s0
	s_waitcnt lgkmcnt(0)
	s_barrier
	s_waitcnt lgkmcnt(0)
	; wave barrier
	s_waitcnt vmcnt(6)
	v_lshrrev_b32_sdwa v5, s48, v3 dst_sel:DWORD dst_unused:UNUSED_PAD src0_sel:DWORD src1_sel:WORD_0
	v_and_b32_e32 v15, s14, v5
	v_and_b32_e32 v16, 1, v15
	v_lshlrev_b32_e32 v5, 30, v15
	s_waitcnt vmcnt(5)
	v_mad_u64_u32 v[0:1], s[0:1], v0, v1, v[2:3]
	v_add_co_u32_e32 v1, vcc, -1, v16
	v_addc_co_u32_e64 v17, s[0:1], 0, -1, vcc
	v_cmp_ne_u32_e32 vcc, 0, v16
	v_cmp_gt_i64_e64 s[0:1], 0, v[4:5]
	v_not_b32_e32 v16, v5
	v_lshlrev_b32_e32 v5, 29, v15
	v_lshrrev_b32_e32 v21, 6, v0
	v_xor_b32_e32 v0, vcc_hi, v17
	v_xor_b32_e32 v1, vcc_lo, v1
	v_ashrrev_i32_e32 v16, 31, v16
	v_cmp_gt_i64_e32 vcc, 0, v[4:5]
	v_not_b32_e32 v17, v5
	v_lshlrev_b32_e32 v5, 28, v15
	v_and_b32_e32 v0, exec_hi, v0
	v_and_b32_e32 v1, exec_lo, v1
	v_xor_b32_e32 v18, s1, v16
	v_xor_b32_e32 v16, s0, v16
	v_ashrrev_i32_e32 v17, 31, v17
	v_cmp_gt_i64_e64 s[0:1], 0, v[4:5]
	v_not_b32_e32 v19, v5
	v_lshlrev_b32_e32 v5, 27, v15
	v_and_b32_e32 v0, v0, v18
	v_and_b32_e32 v1, v1, v16
	v_xor_b32_e32 v16, vcc_hi, v17
	v_xor_b32_e32 v17, vcc_lo, v17
	v_ashrrev_i32_e32 v18, 31, v19
	v_cmp_gt_i64_e32 vcc, 0, v[4:5]
	v_not_b32_e32 v5, v5
	v_and_b32_e32 v0, v0, v16
	v_and_b32_e32 v1, v1, v17
	v_xor_b32_e32 v16, s1, v18
	v_xor_b32_e32 v17, s0, v18
	v_ashrrev_i32_e32 v5, 31, v5
	v_and_b32_e32 v0, v0, v16
	v_and_b32_e32 v1, v1, v17
	v_xor_b32_e32 v16, vcc_hi, v5
	v_xor_b32_e32 v5, vcc_lo, v5
	v_and_b32_e32 v1, v1, v5
	v_lshlrev_b32_e32 v5, 26, v15
	v_cmp_gt_i64_e32 vcc, 0, v[4:5]
	v_not_b32_e32 v5, v5
	v_ashrrev_i32_e32 v5, 31, v5
	v_and_b32_e32 v0, v0, v16
	v_xor_b32_e32 v16, vcc_hi, v5
	v_xor_b32_e32 v5, vcc_lo, v5
	v_and_b32_e32 v1, v1, v5
	v_lshlrev_b32_e32 v5, 25, v15
	v_cmp_gt_i64_e32 vcc, 0, v[4:5]
	v_not_b32_e32 v5, v5
	v_ashrrev_i32_e32 v5, 31, v5
	v_and_b32_e32 v0, v0, v16
	v_xor_b32_e32 v16, vcc_hi, v5
	v_xor_b32_e32 v5, vcc_lo, v5
	v_and_b32_e32 v0, v0, v16
	v_and_b32_e32 v16, v1, v5
	v_lshlrev_b32_e32 v5, 24, v15
	v_not_b32_e32 v1, v5
	v_cmp_gt_i64_e32 vcc, 0, v[4:5]
	v_ashrrev_i32_e32 v1, 31, v1
	v_mul_u32_u24_e32 v14, 17, v15
	v_xor_b32_e32 v5, vcc_hi, v1
	v_xor_b32_e32 v15, vcc_lo, v1
	v_and_b32_e32 v1, v0, v5
	v_and_b32_e32 v0, v16, v15
	v_mbcnt_lo_u32_b32 v5, v0, 0
	v_mbcnt_hi_u32_b32 v15, v1, v5
	v_cmp_eq_u32_e32 vcc, 0, v15
	v_cmp_ne_u64_e64 s[0:1], 0, v[0:1]
	v_add_lshl_u32 v14, v21, v14, 2
	s_and_b64 s[2:3], s[0:1], vcc
	s_and_saveexec_b64 s[0:1], s[2:3]
	s_cbranch_execz .LBB25_89
; %bb.88:
	v_bcnt_u32_b32 v0, v0, 0
	v_bcnt_u32_b32 v0, v1, v0
	ds_write_b32 v14, v0 offset:64
.LBB25_89:
	s_or_b64 exec, exec, s[0:1]
	s_waitcnt vmcnt(4)
	v_lshrrev_b32_sdwa v0, s48, v12 dst_sel:DWORD dst_unused:UNUSED_PAD src0_sel:DWORD src1_sel:WORD_0
	v_and_b32_e32 v0, s14, v0
	v_mul_u32_u24_e32 v1, 17, v0
	v_add_lshl_u32 v17, v21, v1, 2
	v_and_b32_e32 v1, 1, v0
	v_add_co_u32_e32 v5, vcc, -1, v1
	v_addc_co_u32_e64 v18, s[0:1], 0, -1, vcc
	v_cmp_ne_u32_e32 vcc, 0, v1
	v_xor_b32_e32 v5, vcc_lo, v5
	v_xor_b32_e32 v1, vcc_hi, v18
	v_and_b32_e32 v18, exec_lo, v5
	v_lshlrev_b32_e32 v5, 30, v0
	v_cmp_gt_i64_e32 vcc, 0, v[4:5]
	v_not_b32_e32 v5, v5
	v_ashrrev_i32_e32 v5, 31, v5
	v_xor_b32_e32 v19, vcc_hi, v5
	v_xor_b32_e32 v5, vcc_lo, v5
	v_and_b32_e32 v18, v18, v5
	v_lshlrev_b32_e32 v5, 29, v0
	v_cmp_gt_i64_e32 vcc, 0, v[4:5]
	v_not_b32_e32 v5, v5
	v_and_b32_e32 v1, exec_hi, v1
	v_ashrrev_i32_e32 v5, 31, v5
	v_and_b32_e32 v1, v1, v19
	v_xor_b32_e32 v19, vcc_hi, v5
	v_xor_b32_e32 v5, vcc_lo, v5
	v_and_b32_e32 v18, v18, v5
	v_lshlrev_b32_e32 v5, 28, v0
	v_cmp_gt_i64_e32 vcc, 0, v[4:5]
	v_not_b32_e32 v5, v5
	v_ashrrev_i32_e32 v5, 31, v5
	v_and_b32_e32 v1, v1, v19
	v_xor_b32_e32 v19, vcc_hi, v5
	v_xor_b32_e32 v5, vcc_lo, v5
	v_and_b32_e32 v18, v18, v5
	v_lshlrev_b32_e32 v5, 27, v0
	v_cmp_gt_i64_e32 vcc, 0, v[4:5]
	v_not_b32_e32 v5, v5
	;; [unrolled: 8-line block ×4, first 2 shown]
	v_ashrrev_i32_e32 v5, 31, v5
	v_and_b32_e32 v1, v1, v19
	v_xor_b32_e32 v19, vcc_hi, v5
	v_xor_b32_e32 v5, vcc_lo, v5
	v_and_b32_e32 v18, v18, v5
	v_lshlrev_b32_e32 v5, 24, v0
	v_not_b32_e32 v0, v5
	v_cmp_gt_i64_e32 vcc, 0, v[4:5]
	v_ashrrev_i32_e32 v0, 31, v0
	v_xor_b32_e32 v4, vcc_hi, v0
	v_xor_b32_e32 v0, vcc_lo, v0
	; wave barrier
	ds_read_b32 v16, v17 offset:64
	v_and_b32_e32 v1, v1, v19
	v_and_b32_e32 v0, v18, v0
	;; [unrolled: 1-line block ×3, first 2 shown]
	v_mbcnt_lo_u32_b32 v4, v0, 0
	v_mbcnt_hi_u32_b32 v18, v1, v4
	v_cmp_eq_u32_e32 vcc, 0, v18
	v_cmp_ne_u64_e64 s[0:1], 0, v[0:1]
	s_and_b64 s[2:3], s[0:1], vcc
	; wave barrier
	s_and_saveexec_b64 s[0:1], s[2:3]
	s_cbranch_execz .LBB25_91
; %bb.90:
	v_bcnt_u32_b32 v0, v0, 0
	v_bcnt_u32_b32 v0, v1, v0
	s_waitcnt lgkmcnt(0)
	v_add_u32_e32 v0, v16, v0
	ds_write_b32 v17, v0 offset:64
.LBB25_91:
	s_or_b64 exec, exec, s[0:1]
	s_waitcnt vmcnt(3)
	v_lshrrev_b32_sdwa v0, s48, v9 dst_sel:DWORD dst_unused:UNUSED_PAD src0_sel:DWORD src1_sel:WORD_0
	v_and_b32_e32 v4, s14, v0
	v_and_b32_e32 v1, 1, v4
	v_add_co_u32_e32 v5, vcc, -1, v1
	v_addc_co_u32_e64 v22, s[0:1], 0, -1, vcc
	v_cmp_ne_u32_e32 vcc, 0, v1
	v_mul_u32_u24_e32 v0, 17, v4
	v_xor_b32_e32 v1, vcc_hi, v22
	v_add_lshl_u32 v20, v21, v0, 2
	v_mov_b32_e32 v0, 0
	v_and_b32_e32 v22, exec_hi, v1
	v_lshlrev_b32_e32 v1, 30, v4
	v_xor_b32_e32 v5, vcc_lo, v5
	v_cmp_gt_i64_e32 vcc, 0, v[0:1]
	v_not_b32_e32 v1, v1
	v_ashrrev_i32_e32 v1, 31, v1
	v_and_b32_e32 v5, exec_lo, v5
	v_xor_b32_e32 v23, vcc_hi, v1
	v_xor_b32_e32 v1, vcc_lo, v1
	v_and_b32_e32 v5, v5, v1
	v_lshlrev_b32_e32 v1, 29, v4
	v_cmp_gt_i64_e32 vcc, 0, v[0:1]
	v_not_b32_e32 v1, v1
	v_ashrrev_i32_e32 v1, 31, v1
	v_and_b32_e32 v22, v22, v23
	v_xor_b32_e32 v23, vcc_hi, v1
	v_xor_b32_e32 v1, vcc_lo, v1
	v_and_b32_e32 v5, v5, v1
	v_lshlrev_b32_e32 v1, 28, v4
	v_cmp_gt_i64_e32 vcc, 0, v[0:1]
	v_not_b32_e32 v1, v1
	v_ashrrev_i32_e32 v1, 31, v1
	v_and_b32_e32 v22, v22, v23
	v_xor_b32_e32 v23, vcc_hi, v1
	v_xor_b32_e32 v1, vcc_lo, v1
	v_and_b32_e32 v5, v5, v1
	v_lshlrev_b32_e32 v1, 27, v4
	v_cmp_gt_i64_e32 vcc, 0, v[0:1]
	v_not_b32_e32 v1, v1
	v_ashrrev_i32_e32 v1, 31, v1
	v_and_b32_e32 v22, v22, v23
	v_xor_b32_e32 v23, vcc_hi, v1
	v_xor_b32_e32 v1, vcc_lo, v1
	v_and_b32_e32 v5, v5, v1
	v_lshlrev_b32_e32 v1, 26, v4
	v_cmp_gt_i64_e32 vcc, 0, v[0:1]
	v_not_b32_e32 v1, v1
	v_ashrrev_i32_e32 v1, 31, v1
	v_and_b32_e32 v22, v22, v23
	v_xor_b32_e32 v23, vcc_hi, v1
	v_xor_b32_e32 v1, vcc_lo, v1
	v_and_b32_e32 v5, v5, v1
	v_lshlrev_b32_e32 v1, 25, v4
	v_cmp_gt_i64_e32 vcc, 0, v[0:1]
	v_not_b32_e32 v1, v1
	v_ashrrev_i32_e32 v1, 31, v1
	v_and_b32_e32 v22, v22, v23
	v_xor_b32_e32 v23, vcc_hi, v1
	v_xor_b32_e32 v1, vcc_lo, v1
	v_and_b32_e32 v22, v22, v23
	v_and_b32_e32 v23, v5, v1
	v_lshlrev_b32_e32 v1, 24, v4
	v_cmp_gt_i64_e32 vcc, 0, v[0:1]
	v_not_b32_e32 v1, v1
	v_ashrrev_i32_e32 v1, 31, v1
	v_xor_b32_e32 v4, vcc_hi, v1
	v_xor_b32_e32 v1, vcc_lo, v1
	; wave barrier
	ds_read_b32 v19, v20 offset:64
	v_and_b32_e32 v5, v22, v4
	v_and_b32_e32 v4, v23, v1
	v_mbcnt_lo_u32_b32 v1, v4, 0
	v_mbcnt_hi_u32_b32 v22, v5, v1
	v_cmp_eq_u32_e32 vcc, 0, v22
	v_cmp_ne_u64_e64 s[0:1], 0, v[4:5]
	s_and_b64 s[2:3], s[0:1], vcc
	; wave barrier
	s_and_saveexec_b64 s[0:1], s[2:3]
	s_cbranch_execz .LBB25_93
; %bb.92:
	v_bcnt_u32_b32 v1, v4, 0
	v_bcnt_u32_b32 v1, v5, v1
	s_waitcnt lgkmcnt(0)
	v_add_u32_e32 v1, v19, v1
	ds_write_b32 v20, v1 offset:64
.LBB25_93:
	s_or_b64 exec, exec, s[0:1]
	s_waitcnt vmcnt(2)
	v_lshrrev_b32_sdwa v1, s48, v8 dst_sel:DWORD dst_unused:UNUSED_PAD src0_sel:DWORD src1_sel:WORD_0
	v_and_b32_e32 v4, s14, v1
	v_mul_u32_u24_e32 v1, 17, v4
	v_add_lshl_u32 v24, v21, v1, 2
	v_and_b32_e32 v1, 1, v4
	v_add_co_u32_e32 v5, vcc, -1, v1
	v_addc_co_u32_e64 v25, s[0:1], 0, -1, vcc
	v_cmp_ne_u32_e32 vcc, 0, v1
	v_xor_b32_e32 v1, vcc_hi, v25
	v_and_b32_e32 v25, exec_hi, v1
	v_lshlrev_b32_e32 v1, 30, v4
	v_xor_b32_e32 v5, vcc_lo, v5
	v_cmp_gt_i64_e32 vcc, 0, v[0:1]
	v_not_b32_e32 v1, v1
	v_ashrrev_i32_e32 v1, 31, v1
	v_and_b32_e32 v5, exec_lo, v5
	v_xor_b32_e32 v26, vcc_hi, v1
	v_xor_b32_e32 v1, vcc_lo, v1
	v_and_b32_e32 v5, v5, v1
	v_lshlrev_b32_e32 v1, 29, v4
	v_cmp_gt_i64_e32 vcc, 0, v[0:1]
	v_not_b32_e32 v1, v1
	v_ashrrev_i32_e32 v1, 31, v1
	v_and_b32_e32 v25, v25, v26
	v_xor_b32_e32 v26, vcc_hi, v1
	v_xor_b32_e32 v1, vcc_lo, v1
	v_and_b32_e32 v5, v5, v1
	v_lshlrev_b32_e32 v1, 28, v4
	v_cmp_gt_i64_e32 vcc, 0, v[0:1]
	v_not_b32_e32 v1, v1
	v_ashrrev_i32_e32 v1, 31, v1
	v_and_b32_e32 v25, v25, v26
	;; [unrolled: 8-line block ×5, first 2 shown]
	v_xor_b32_e32 v26, vcc_hi, v1
	v_xor_b32_e32 v1, vcc_lo, v1
	v_and_b32_e32 v5, v5, v1
	v_lshlrev_b32_e32 v1, 24, v4
	v_cmp_gt_i64_e32 vcc, 0, v[0:1]
	v_not_b32_e32 v0, v1
	v_ashrrev_i32_e32 v0, 31, v0
	v_xor_b32_e32 v1, vcc_hi, v0
	v_xor_b32_e32 v0, vcc_lo, v0
	; wave barrier
	ds_read_b32 v23, v24 offset:64
	v_and_b32_e32 v25, v25, v26
	v_and_b32_e32 v0, v5, v0
	;; [unrolled: 1-line block ×3, first 2 shown]
	v_mbcnt_lo_u32_b32 v4, v0, 0
	v_mbcnt_hi_u32_b32 v25, v1, v4
	v_cmp_eq_u32_e32 vcc, 0, v25
	v_cmp_ne_u64_e64 s[0:1], 0, v[0:1]
	s_and_b64 s[2:3], s[0:1], vcc
	; wave barrier
	s_and_saveexec_b64 s[0:1], s[2:3]
	s_cbranch_execz .LBB25_95
; %bb.94:
	v_bcnt_u32_b32 v0, v0, 0
	v_bcnt_u32_b32 v0, v1, v0
	s_waitcnt lgkmcnt(0)
	v_add_u32_e32 v0, v23, v0
	ds_write_b32 v24, v0 offset:64
.LBB25_95:
	s_or_b64 exec, exec, s[0:1]
	s_waitcnt vmcnt(1)
	v_lshrrev_b32_sdwa v0, s48, v7 dst_sel:DWORD dst_unused:UNUSED_PAD src0_sel:DWORD src1_sel:WORD_0
	v_and_b32_e32 v4, s14, v0
	v_and_b32_e32 v1, 1, v4
	v_add_co_u32_e32 v5, vcc, -1, v1
	v_addc_co_u32_e64 v28, s[0:1], 0, -1, vcc
	v_cmp_ne_u32_e32 vcc, 0, v1
	v_mul_u32_u24_e32 v0, 17, v4
	v_xor_b32_e32 v1, vcc_hi, v28
	v_add_lshl_u32 v27, v21, v0, 2
	v_mov_b32_e32 v0, 0
	v_and_b32_e32 v28, exec_hi, v1
	v_lshlrev_b32_e32 v1, 30, v4
	v_xor_b32_e32 v5, vcc_lo, v5
	v_cmp_gt_i64_e32 vcc, 0, v[0:1]
	v_not_b32_e32 v1, v1
	v_ashrrev_i32_e32 v1, 31, v1
	v_and_b32_e32 v5, exec_lo, v5
	v_xor_b32_e32 v29, vcc_hi, v1
	v_xor_b32_e32 v1, vcc_lo, v1
	v_and_b32_e32 v5, v5, v1
	v_lshlrev_b32_e32 v1, 29, v4
	v_cmp_gt_i64_e32 vcc, 0, v[0:1]
	v_not_b32_e32 v1, v1
	v_ashrrev_i32_e32 v1, 31, v1
	v_and_b32_e32 v28, v28, v29
	v_xor_b32_e32 v29, vcc_hi, v1
	v_xor_b32_e32 v1, vcc_lo, v1
	v_and_b32_e32 v5, v5, v1
	v_lshlrev_b32_e32 v1, 28, v4
	v_cmp_gt_i64_e32 vcc, 0, v[0:1]
	v_not_b32_e32 v1, v1
	v_ashrrev_i32_e32 v1, 31, v1
	v_and_b32_e32 v28, v28, v29
	;; [unrolled: 8-line block ×5, first 2 shown]
	v_xor_b32_e32 v29, vcc_hi, v1
	v_xor_b32_e32 v1, vcc_lo, v1
	v_and_b32_e32 v28, v28, v29
	v_and_b32_e32 v29, v5, v1
	v_lshlrev_b32_e32 v1, 24, v4
	v_cmp_gt_i64_e32 vcc, 0, v[0:1]
	v_not_b32_e32 v1, v1
	v_ashrrev_i32_e32 v1, 31, v1
	v_xor_b32_e32 v4, vcc_hi, v1
	v_xor_b32_e32 v1, vcc_lo, v1
	; wave barrier
	ds_read_b32 v26, v27 offset:64
	v_and_b32_e32 v5, v28, v4
	v_and_b32_e32 v4, v29, v1
	v_mbcnt_lo_u32_b32 v1, v4, 0
	v_mbcnt_hi_u32_b32 v28, v5, v1
	v_cmp_eq_u32_e32 vcc, 0, v28
	v_cmp_ne_u64_e64 s[0:1], 0, v[4:5]
	s_and_b64 s[2:3], s[0:1], vcc
	; wave barrier
	s_and_saveexec_b64 s[0:1], s[2:3]
	s_cbranch_execz .LBB25_97
; %bb.96:
	v_bcnt_u32_b32 v1, v4, 0
	v_bcnt_u32_b32 v1, v5, v1
	s_waitcnt lgkmcnt(0)
	v_add_u32_e32 v1, v26, v1
	ds_write_b32 v27, v1 offset:64
.LBB25_97:
	s_or_b64 exec, exec, s[0:1]
	s_waitcnt vmcnt(0)
	v_lshrrev_b32_sdwa v1, s48, v6 dst_sel:DWORD dst_unused:UNUSED_PAD src0_sel:DWORD src1_sel:WORD_0
	v_and_b32_e32 v4, s14, v1
	v_mul_u32_u24_e32 v1, 17, v4
	v_add_lshl_u32 v29, v21, v1, 2
	v_and_b32_e32 v1, 1, v4
	v_add_co_u32_e32 v5, vcc, -1, v1
	v_addc_co_u32_e64 v31, s[0:1], 0, -1, vcc
	v_cmp_ne_u32_e32 vcc, 0, v1
	v_xor_b32_e32 v1, vcc_hi, v31
	v_and_b32_e32 v31, exec_hi, v1
	v_lshlrev_b32_e32 v1, 30, v4
	v_xor_b32_e32 v5, vcc_lo, v5
	v_cmp_gt_i64_e32 vcc, 0, v[0:1]
	v_not_b32_e32 v1, v1
	v_ashrrev_i32_e32 v1, 31, v1
	v_and_b32_e32 v5, exec_lo, v5
	v_xor_b32_e32 v32, vcc_hi, v1
	v_xor_b32_e32 v1, vcc_lo, v1
	v_and_b32_e32 v5, v5, v1
	v_lshlrev_b32_e32 v1, 29, v4
	v_cmp_gt_i64_e32 vcc, 0, v[0:1]
	v_not_b32_e32 v1, v1
	v_ashrrev_i32_e32 v1, 31, v1
	v_and_b32_e32 v31, v31, v32
	v_xor_b32_e32 v32, vcc_hi, v1
	v_xor_b32_e32 v1, vcc_lo, v1
	v_and_b32_e32 v5, v5, v1
	v_lshlrev_b32_e32 v1, 28, v4
	v_cmp_gt_i64_e32 vcc, 0, v[0:1]
	v_not_b32_e32 v1, v1
	v_ashrrev_i32_e32 v1, 31, v1
	v_and_b32_e32 v31, v31, v32
	;; [unrolled: 8-line block ×5, first 2 shown]
	v_xor_b32_e32 v32, vcc_hi, v1
	v_xor_b32_e32 v1, vcc_lo, v1
	v_and_b32_e32 v5, v5, v1
	v_lshlrev_b32_e32 v1, 24, v4
	v_cmp_gt_i64_e32 vcc, 0, v[0:1]
	v_not_b32_e32 v0, v1
	v_ashrrev_i32_e32 v0, 31, v0
	v_xor_b32_e32 v1, vcc_hi, v0
	v_xor_b32_e32 v0, vcc_lo, v0
	; wave barrier
	ds_read_b32 v21, v29 offset:64
	v_and_b32_e32 v31, v31, v32
	v_and_b32_e32 v0, v5, v0
	;; [unrolled: 1-line block ×3, first 2 shown]
	v_mbcnt_lo_u32_b32 v4, v0, 0
	v_mbcnt_hi_u32_b32 v31, v1, v4
	v_cmp_eq_u32_e32 vcc, 0, v31
	v_cmp_ne_u64_e64 s[0:1], 0, v[0:1]
	v_add_u32_e32 v30, 64, v13
	s_and_b64 s[2:3], s[0:1], vcc
	; wave barrier
	s_and_saveexec_b64 s[0:1], s[2:3]
	s_cbranch_execz .LBB25_99
; %bb.98:
	v_bcnt_u32_b32 v0, v0, 0
	v_bcnt_u32_b32 v0, v1, v0
	s_waitcnt lgkmcnt(0)
	v_add_u32_e32 v0, v21, v0
	ds_write_b32 v29, v0 offset:64
.LBB25_99:
	s_or_b64 exec, exec, s[0:1]
	; wave barrier
	s_waitcnt lgkmcnt(0)
	s_barrier
	ds_read2_b32 v[4:5], v13 offset0:16 offset1:17
	ds_read2_b32 v[0:1], v30 offset0:2 offset1:3
	ds_read_b32 v32, v30 offset:16
	v_cmp_lt_u32_e64 s[8:9], 31, v11
	s_waitcnt lgkmcnt(1)
	v_add3_u32 v33, v5, v4, v0
	s_waitcnt lgkmcnt(0)
	v_add3_u32 v32, v33, v1, v32
	v_and_b32_e32 v33, 15, v11
	v_cmp_eq_u32_e32 vcc, 0, v33
	v_mov_b32_dpp v34, v32 row_shr:1 row_mask:0xf bank_mask:0xf
	v_cndmask_b32_e64 v34, v34, 0, vcc
	v_add_u32_e32 v32, v34, v32
	v_cmp_lt_u32_e64 s[0:1], 1, v33
	v_cmp_lt_u32_e64 s[2:3], 3, v33
	v_mov_b32_dpp v34, v32 row_shr:2 row_mask:0xf bank_mask:0xf
	v_cndmask_b32_e64 v34, 0, v34, s[0:1]
	v_add_u32_e32 v32, v32, v34
	v_cmp_lt_u32_e64 s[4:5], 7, v33
	s_nop 0
	v_mov_b32_dpp v34, v32 row_shr:4 row_mask:0xf bank_mask:0xf
	v_cndmask_b32_e64 v34, 0, v34, s[2:3]
	v_add_u32_e32 v32, v32, v34
	s_nop 1
	v_mov_b32_dpp v34, v32 row_shr:8 row_mask:0xf bank_mask:0xf
	v_cndmask_b32_e64 v33, 0, v34, s[4:5]
	v_add_u32_e32 v32, v32, v33
	v_bfe_i32 v34, v11, 4, 1
	s_nop 0
	v_mov_b32_dpp v33, v32 row_bcast:15 row_mask:0xf bank_mask:0xf
	v_and_b32_e32 v33, v34, v33
	v_add_u32_e32 v32, v32, v33
	v_and_b32_e32 v34, 63, v2
	s_nop 0
	v_mov_b32_dpp v33, v32 row_bcast:31 row_mask:0xf bank_mask:0xf
	v_cndmask_b32_e64 v33, 0, v33, s[8:9]
	v_add_u32_e32 v32, v32, v33
	v_lshrrev_b32_e32 v33, 6, v2
	v_cmp_eq_u32_e64 s[8:9], 63, v34
	s_and_saveexec_b64 s[12:13], s[8:9]
	s_cbranch_execz .LBB25_101
; %bb.100:
	v_lshlrev_b32_e32 v34, 2, v33
	ds_write_b32 v34, v32
.LBB25_101:
	s_or_b64 exec, exec, s[12:13]
	v_cmp_gt_u32_e64 s[8:9], 16, v2
	s_waitcnt lgkmcnt(0)
	s_barrier
	s_and_saveexec_b64 s[12:13], s[8:9]
	s_cbranch_execz .LBB25_103
; %bb.102:
	v_lshlrev_b32_e32 v34, 2, v2
	ds_read_b32 v35, v34
	s_waitcnt lgkmcnt(0)
	s_nop 0
	v_mov_b32_dpp v36, v35 row_shr:1 row_mask:0xf bank_mask:0xf
	v_cndmask_b32_e64 v36, v36, 0, vcc
	v_add_u32_e32 v35, v36, v35
	s_nop 1
	v_mov_b32_dpp v36, v35 row_shr:2 row_mask:0xf bank_mask:0xf
	v_cndmask_b32_e64 v36, 0, v36, s[0:1]
	v_add_u32_e32 v35, v35, v36
	s_nop 1
	v_mov_b32_dpp v36, v35 row_shr:4 row_mask:0xf bank_mask:0xf
	v_cndmask_b32_e64 v36, 0, v36, s[2:3]
	;; [unrolled: 4-line block ×3, first 2 shown]
	v_add_u32_e32 v35, v35, v36
	ds_write_b32 v34, v35
.LBB25_103:
	s_or_b64 exec, exec, s[12:13]
	v_cmp_lt_u32_e32 vcc, 63, v2
	v_mov_b32_e32 v34, 0
	s_waitcnt lgkmcnt(0)
	s_barrier
	s_and_saveexec_b64 s[0:1], vcc
	s_cbranch_execz .LBB25_105
; %bb.104:
	v_lshl_add_u32 v33, v33, 2, -4
	ds_read_b32 v34, v33
.LBB25_105:
	s_or_b64 exec, exec, s[0:1]
	v_add_u32_e32 v33, -1, v11
	v_and_b32_e32 v35, 64, v11
	v_cmp_lt_i32_e32 vcc, v33, v35
	v_cndmask_b32_e32 v33, v33, v11, vcc
	s_waitcnt lgkmcnt(0)
	v_add_u32_e32 v32, v34, v32
	v_lshlrev_b32_e32 v33, 2, v33
	ds_bpermute_b32 v32, v33, v32
	v_cmp_eq_u32_e32 vcc, 0, v11
	s_movk_i32 s2, 0xff
	s_movk_i32 s3, 0x100
	v_cmp_lt_u32_e64 s[0:1], s2, v2
	s_waitcnt lgkmcnt(0)
	v_cndmask_b32_e32 v32, v32, v34, vcc
	v_cmp_ne_u32_e32 vcc, 0, v2
	v_cndmask_b32_e32 v32, 0, v32, vcc
	v_add_u32_e32 v4, v32, v4
	v_add_u32_e32 v5, v4, v5
	;; [unrolled: 1-line block ×4, first 2 shown]
	ds_write2_b32 v13, v32, v4 offset0:16 offset1:17
	ds_write2_b32 v30, v5, v0 offset0:2 offset1:3
	ds_write_b32 v30, v1 offset:16
	s_waitcnt lgkmcnt(0)
	s_barrier
	ds_read_b32 v4, v14 offset:64
	ds_read_b32 v5, v17 offset:64
	;; [unrolled: 1-line block ×6, first 2 shown]
	v_cmp_gt_u32_e32 vcc, s3, v2
	v_pk_mov_b32 v[0:1], 0, 0
                                        ; implicit-def: $vgpr13
	s_and_saveexec_b64 s[4:5], vcc
	s_cbranch_execz .LBB25_109
; %bb.106:
	v_mul_u32_u24_e32 v0, 17, v2
	v_lshlrev_b32_e32 v13, 2, v0
	ds_read_b32 v0, v13 offset:64
	v_cmp_ne_u32_e64 s[2:3], s2, v2
	v_mov_b32_e32 v1, 0x1800
	s_and_saveexec_b64 s[8:9], s[2:3]
	s_cbranch_execz .LBB25_108
; %bb.107:
	ds_read_b32 v1, v13 offset:132
.LBB25_108:
	s_or_b64 exec, exec, s[8:9]
	s_waitcnt lgkmcnt(0)
	v_sub_u32_e32 v13, v1, v0
	v_mov_b32_e32 v1, 0
.LBB25_109:
	s_or_b64 exec, exec, s[4:5]
	s_waitcnt lgkmcnt(5)
	v_add_u32_e32 v20, v4, v15
	s_waitcnt lgkmcnt(4)
	v_add3_u32 v18, v18, v16, v5
	v_lshlrev_b32_e32 v4, 1, v20
	s_waitcnt lgkmcnt(3)
	v_add3_u32 v17, v22, v19, v14
	s_waitcnt lgkmcnt(0)
	s_barrier
	ds_write_b16 v4, v3 offset:2048
	v_lshlrev_b32_e32 v3, 1, v18
	v_add3_u32 v16, v25, v23, v24
	ds_write_b16 v3, v12 offset:2048
	v_lshlrev_b32_e32 v3, 1, v17
	v_add3_u32 v15, v28, v26, v27
	;; [unrolled: 3-line block ×3, first 2 shown]
	ds_write_b16 v3, v8 offset:2048
	v_lshlrev_b32_e32 v3, 1, v15
	ds_write_b16 v3, v7 offset:2048
	v_lshlrev_b32_e32 v3, 1, v14
	ds_write_b16 v3, v6 offset:2048
	s_waitcnt lgkmcnt(0)
	s_barrier
	s_and_saveexec_b64 s[2:3], s[0:1]
	s_xor_b64 s[0:1], exec, s[2:3]
; %bb.110:
	v_mov_b32_e32 v3, 0
; %bb.111:
	s_andn2_saveexec_b64 s[2:3], s[0:1]
	s_cbranch_execz .LBB25_121
; %bb.112:
	v_lshl_or_b32 v4, s6, 8, v2
	v_mov_b32_e32 v5, 0
	v_lshlrev_b64 v[6:7], 2, v[4:5]
	v_mov_b32_e32 v3, s35
	v_add_co_u32_e64 v6, s[0:1], s34, v6
	v_addc_co_u32_e64 v7, s[0:1], v3, v7, s[0:1]
	v_or_b32_e32 v4, 2.0, v13
	s_mov_b64 s[4:5], 0
	s_brev_b32 s15, 1
	s_mov_b32 s16, s6
	v_mov_b32_e32 v12, 0
	global_store_dword v[6:7], v4, off
                                        ; implicit-def: $sgpr0_sgpr1
	s_branch .LBB25_115
.LBB25_113:                             ;   in Loop: Header=BB25_115 Depth=1
	s_or_b64 exec, exec, s[12:13]
.LBB25_114:                             ;   in Loop: Header=BB25_115 Depth=1
	s_or_b64 exec, exec, s[8:9]
	v_and_b32_e32 v8, 0x3fffffff, v19
	v_add_u32_e32 v12, v8, v12
	v_cmp_eq_u32_e64 s[0:1], s15, v4
	s_and_b64 s[8:9], exec, s[0:1]
	s_or_b64 s[4:5], s[8:9], s[4:5]
	s_andn2_b64 exec, exec, s[4:5]
	s_cbranch_execz .LBB25_120
.LBB25_115:                             ; =>This Loop Header: Depth=1
                                        ;     Child Loop BB25_118 Depth 2
	s_or_b64 s[0:1], s[0:1], exec
	s_cmp_eq_u32 s16, 0
	s_cbranch_scc1 .LBB25_119
; %bb.116:                              ;   in Loop: Header=BB25_115 Depth=1
	s_add_i32 s16, s16, -1
	v_lshl_or_b32 v4, s16, 8, v2
	v_lshlrev_b64 v[8:9], 2, v[4:5]
	v_add_co_u32_e64 v8, s[0:1], s34, v8
	v_addc_co_u32_e64 v9, s[0:1], v3, v9, s[0:1]
	global_load_dword v19, v[8:9], off glc
	s_waitcnt vmcnt(0)
	v_and_b32_e32 v4, -2.0, v19
	v_cmp_eq_u32_e64 s[0:1], 0, v4
	s_and_saveexec_b64 s[8:9], s[0:1]
	s_cbranch_execz .LBB25_114
; %bb.117:                              ;   in Loop: Header=BB25_115 Depth=1
	s_mov_b64 s[12:13], 0
.LBB25_118:                             ;   Parent Loop BB25_115 Depth=1
                                        ; =>  This Inner Loop Header: Depth=2
	global_load_dword v19, v[8:9], off glc
	s_waitcnt vmcnt(0)
	v_and_b32_e32 v4, -2.0, v19
	v_cmp_ne_u32_e64 s[0:1], 0, v4
	s_or_b64 s[12:13], s[0:1], s[12:13]
	s_andn2_b64 exec, exec, s[12:13]
	s_cbranch_execnz .LBB25_118
	s_branch .LBB25_113
.LBB25_119:                             ;   in Loop: Header=BB25_115 Depth=1
                                        ; implicit-def: $sgpr16
	s_and_b64 s[8:9], exec, s[0:1]
	s_or_b64 s[4:5], s[8:9], s[4:5]
	s_andn2_b64 exec, exec, s[4:5]
	s_cbranch_execnz .LBB25_115
.LBB25_120:
	s_or_b64 exec, exec, s[4:5]
	v_add_u32_e32 v3, v12, v13
	v_or_b32_e32 v3, 0x80000000, v3
	global_store_dword v[6:7], v3, off
	v_lshlrev_b32_e32 v6, 3, v2
	global_load_dwordx2 v[4:5], v6, s[44:45]
	v_sub_co_u32_e64 v7, s[0:1], v12, v0
	v_subb_co_u32_e64 v8, s[0:1], 0, v1, s[0:1]
	v_mov_b32_e32 v3, 0
	s_waitcnt vmcnt(0)
	v_add_co_u32_e64 v4, s[0:1], v7, v4
	v_addc_co_u32_e64 v5, s[0:1], v8, v5, s[0:1]
	ds_write_b64 v6, v[4:5]
.LBB25_121:
	s_or_b64 exec, exec, s[2:3]
	v_lshlrev_b32_e32 v4, 1, v2
	s_waitcnt lgkmcnt(0)
	s_barrier
	ds_read_u16 v12, v4 offset:2048
	v_lshlrev_b32_e32 v19, 1, v2
	ds_read_u16 v21, v19 offset:4096
	ds_read_u16 v34, v19 offset:8192
	;; [unrolled: 1-line block ×3, first 2 shown]
	v_mov_b32_e32 v8, s39
	v_or_b32_e32 v40, 0x800, v2
	s_waitcnt lgkmcnt(3)
	v_lshrrev_b32_sdwa v4, s48, v12 dst_sel:DWORD dst_unused:UNUSED_PAD src0_sel:DWORD src1_sel:WORD_0
	v_and_b32_e32 v4, s14, v4
	v_lshlrev_b32_e32 v36, 3, v4
	s_waitcnt lgkmcnt(2)
	v_lshrrev_b32_sdwa v4, s48, v21 dst_sel:DWORD dst_unused:UNUSED_PAD src0_sel:DWORD src1_sel:WORD_0
	v_and_b32_e32 v6, s14, v4
	ds_read_b64 v[4:5], v36
	v_lshlrev_b32_e32 v37, 3, v6
	ds_read_u16 v38, v19 offset:6144
	ds_read_b64 v[6:7], v37
	ds_read_u16 v39, v19 offset:10240
	v_mov_b32_e32 v43, s39
	v_lshlrev_b32_e32 v20, 3, v20
	s_waitcnt lgkmcnt(3)
	v_lshlrev_b64 v[4:5], 1, v[4:5]
	v_add_co_u32_e64 v9, s[0:1], s38, v4
	v_addc_co_u32_e64 v22, s[0:1], v8, v5, s[0:1]
	v_lshlrev_b64 v[4:5], 1, v[2:3]
	v_add_co_u32_e64 v8, s[0:1], v9, v4
	v_addc_co_u32_e64 v9, s[0:1], v22, v5, s[0:1]
	s_waitcnt lgkmcnt(1)
	v_lshlrev_b64 v[6:7], 1, v[6:7]
	global_store_short v[8:9], v12, off
	v_or_b32_e32 v12, 0x800, v19
	v_mov_b32_e32 v8, s39
	v_add_co_u32_e64 v19, s[0:1], s38, v6
	v_addc_co_u32_e64 v22, s[0:1], v8, v7, s[0:1]
	s_lshl_b64 s[0:1], s[30:31], 3
	s_add_u32 s0, s40, s0
	s_addc_u32 s1, s41, s1
	v_lshlrev_b32_e32 v6, 3, v11
	v_mov_b32_e32 v7, s1
	v_add_co_u32_e64 v6, s[0:1], s0, v6
	v_addc_co_u32_e64 v7, s[0:1], 0, v7, s[0:1]
	v_lshlrev_b32_e32 v8, 3, v10
	v_add_co_u32_e64 v6, s[0:1], v6, v8
	v_addc_co_u32_e64 v7, s[0:1], 0, v7, s[0:1]
	global_load_dwordx2 v[8:9], v[6:7], off
	global_load_dwordx2 v[10:11], v[6:7], off offset:512
	v_add_co_u32_e64 v4, s[0:1], v19, v4
	v_addc_co_u32_e64 v5, s[0:1], v22, v5, s[0:1]
	global_store_short v[4:5], v21, off offset:2048
	global_load_dwordx2 v[4:5], v[6:7], off offset:1024
	v_lshrrev_b32_sdwa v19, s48, v38 dst_sel:DWORD dst_unused:UNUSED_PAD src0_sel:DWORD src1_sel:WORD_0
	global_load_dwordx2 v[22:23], v[6:7], off offset:1536
	global_load_dwordx2 v[24:25], v[6:7], off offset:2048
	s_waitcnt lgkmcnt(0)
	v_lshrrev_b32_sdwa v26, s48, v39 dst_sel:DWORD dst_unused:UNUSED_PAD src0_sel:DWORD src1_sel:WORD_0
	global_load_dwordx2 v[6:7], v[6:7], off offset:2560
	v_and_b32_e32 v19, s14, v19
	v_and_b32_e32 v26, s14, v26
	v_lshlrev_b32_e32 v19, 3, v19
	v_lshlrev_b32_e32 v41, 3, v26
	v_lshrrev_b32_sdwa v26, s48, v35 dst_sel:DWORD dst_unused:UNUSED_PAD src0_sel:DWORD src1_sel:WORD_0
	v_and_b32_e32 v28, s14, v26
	ds_read_b64 v[26:27], v19
	v_lshrrev_b32_sdwa v21, s48, v34 dst_sel:DWORD dst_unused:UNUSED_PAD src0_sel:DWORD src1_sel:WORD_0
	v_and_b32_e32 v21, s14, v21
	v_lshlrev_b32_e32 v21, 3, v21
	v_lshlrev_b32_e32 v42, 3, v28
	s_waitcnt lgkmcnt(0)
	v_lshlrev_b64 v[26:27], 1, v[26:27]
	v_add_co_u32_e64 v26, s[0:1], s38, v26
	ds_read_b64 v[28:29], v21
	ds_read_b64 v[30:31], v41
	;; [unrolled: 1-line block ×3, first 2 shown]
	v_addc_co_u32_e64 v27, s[0:1], v43, v27, s[0:1]
	v_lshlrev_b32_e32 v43, 1, v40
	v_add_co_u32_e64 v26, s[0:1], v26, v43
	v_addc_co_u32_e64 v27, s[0:1], 0, v27, s[0:1]
	global_store_short v[26:27], v38, off
	s_waitcnt lgkmcnt(2)
	v_lshlrev_b64 v[26:27], 1, v[28:29]
	v_or_b32_e32 v38, 0xc00, v2
	v_mov_b32_e32 v28, s39
	v_add_co_u32_e64 v26, s[0:1], s38, v26
	v_addc_co_u32_e64 v27, s[0:1], v28, v27, s[0:1]
	v_lshlrev_b32_e32 v28, 1, v38
	v_add_co_u32_e64 v26, s[0:1], v26, v28
	v_addc_co_u32_e64 v27, s[0:1], 0, v27, s[0:1]
	global_store_short v[26:27], v34, off
	s_waitcnt lgkmcnt(1)
	v_lshlrev_b64 v[26:27], 1, v[30:31]
	v_or_b32_e32 v28, 0x1000, v2
	v_mov_b32_e32 v29, s39
	v_add_co_u32_e64 v26, s[0:1], s38, v26
	v_addc_co_u32_e64 v27, s[0:1], v29, v27, s[0:1]
	v_lshlrev_b32_e32 v29, 1, v28
	v_add_co_u32_e64 v26, s[0:1], v26, v29
	v_addc_co_u32_e64 v27, s[0:1], 0, v27, s[0:1]
	global_store_short v[26:27], v39, off
	s_waitcnt lgkmcnt(0)
	v_lshlrev_b64 v[26:27], 1, v[32:33]
	v_or_b32_e32 v29, 0x1400, v2
	v_mov_b32_e32 v30, s39
	v_add_co_u32_e64 v26, s[0:1], s38, v26
	v_addc_co_u32_e64 v27, s[0:1], v30, v27, s[0:1]
	v_lshlrev_b32_e32 v30, 1, v29
	v_add_co_u32_e64 v26, s[0:1], v26, v30
	v_addc_co_u32_e64 v27, s[0:1], 0, v27, s[0:1]
	global_store_short v[26:27], v35, off
	s_barrier
	v_mad_u32_u24 v12, v2, 6, v12
	s_add_i32 s7, s7, -1
	s_waitcnt vmcnt(10)
	ds_write_b64 v20, v[8:9] offset:2048
	v_lshlrev_b32_e32 v8, 3, v18
	s_waitcnt vmcnt(9)
	ds_write_b64 v8, v[10:11] offset:2048
	v_lshlrev_b32_e32 v8, 3, v17
	s_cmp_eq_u32 s6, s7
	s_waitcnt vmcnt(7)
	ds_write_b64 v8, v[4:5] offset:2048
	v_lshlrev_b32_e32 v4, 3, v16
	s_waitcnt vmcnt(6)
	ds_write_b64 v4, v[22:23] offset:2048
	v_lshlrev_b32_e32 v4, 3, v15
	s_waitcnt vmcnt(5)
	ds_write_b64 v4, v[24:25] offset:2048
	v_lshlrev_b32_e32 v4, 3, v14
	s_waitcnt vmcnt(4)
	ds_write_b64 v4, v[6:7] offset:2048
	s_waitcnt lgkmcnt(0)
	s_barrier
	ds_read_b64 v[4:5], v36
	v_mov_b32_e32 v7, s43
	v_lshlrev_b32_e32 v6, 3, v2
	ds_read_b64 v[8:9], v37
	ds_read_b64 v[10:11], v19
	ds_read_b64 v[14:15], v21
	v_mov_b32_e32 v22, s43
	s_waitcnt lgkmcnt(3)
	v_lshlrev_b64 v[4:5], 3, v[4:5]
	v_add_co_u32_e64 v16, s[0:1], s42, v4
	v_addc_co_u32_e64 v7, s[0:1], v7, v5, s[0:1]
	v_lshlrev_b64 v[4:5], 3, v[2:3]
	v_add_co_u32_e64 v4, s[0:1], v16, v4
	v_addc_co_u32_e64 v5, s[0:1], v7, v5, s[0:1]
	ds_read_b64 v[6:7], v6 offset:2048
	s_waitcnt lgkmcnt(3)
	v_lshlrev_b64 v[8:9], 3, v[8:9]
	ds_read_b64 v[16:17], v41
	ds_read_b64 v[18:19], v12 offset:40960
	ds_read_b64 v[20:21], v42
	v_add_co_u32_e64 v8, s[0:1], s42, v8
	s_waitcnt lgkmcnt(3)
	global_store_dwordx2 v[4:5], v[6:7], off
	ds_read2st64_b64 v[4:7], v12 offset0:16 offset1:32
	v_addc_co_u32_e64 v9, s[0:1], v22, v9, s[0:1]
	v_mov_b32_e32 v22, 0x2000
	v_lshl_or_b32 v22, v2, 3, v22
	v_add_co_u32_e64 v8, s[0:1], v8, v22
	v_addc_co_u32_e64 v9, s[0:1], 0, v9, s[0:1]
	s_waitcnt lgkmcnt(0)
	global_store_dwordx2 v[8:9], v[4:5], off
	v_lshlrev_b64 v[4:5], 3, v[10:11]
	v_mov_b32_e32 v8, s43
	v_add_co_u32_e64 v4, s[0:1], s42, v4
	v_addc_co_u32_e64 v5, s[0:1], v8, v5, s[0:1]
	v_lshlrev_b32_e32 v8, 3, v40
	v_add_co_u32_e64 v4, s[0:1], v4, v8
	v_addc_co_u32_e64 v5, s[0:1], 0, v5, s[0:1]
	global_store_dwordx2 v[4:5], v[6:7], off
	ds_read2st64_b64 v[4:7], v12 offset0:48 offset1:64
	v_lshlrev_b64 v[8:9], 3, v[14:15]
	v_mov_b32_e32 v10, s43
	v_add_co_u32_e64 v8, s[0:1], s42, v8
	v_addc_co_u32_e64 v9, s[0:1], v10, v9, s[0:1]
	v_lshlrev_b32_e32 v10, 3, v38
	v_add_co_u32_e64 v8, s[0:1], v8, v10
	v_addc_co_u32_e64 v9, s[0:1], 0, v9, s[0:1]
	s_waitcnt lgkmcnt(0)
	global_store_dwordx2 v[8:9], v[4:5], off
	v_lshlrev_b64 v[4:5], 3, v[16:17]
	v_mov_b32_e32 v8, s43
	v_add_co_u32_e64 v4, s[0:1], s42, v4
	v_addc_co_u32_e64 v5, s[0:1], v8, v5, s[0:1]
	v_lshlrev_b32_e32 v8, 3, v28
	v_add_co_u32_e64 v4, s[0:1], v4, v8
	v_addc_co_u32_e64 v5, s[0:1], 0, v5, s[0:1]
	global_store_dwordx2 v[4:5], v[6:7], off
	v_lshlrev_b64 v[4:5], 3, v[20:21]
	v_mov_b32_e32 v6, s43
	v_add_co_u32_e64 v4, s[0:1], s42, v4
	v_addc_co_u32_e64 v5, s[0:1], v6, v5, s[0:1]
	v_lshlrev_b32_e32 v6, 3, v29
	v_add_co_u32_e64 v4, s[0:1], v4, v6
	v_addc_co_u32_e64 v5, s[0:1], 0, v5, s[0:1]
	s_cselect_b64 s[0:1], -1, 0
	s_and_b64 s[2:3], vcc, s[0:1]
	global_store_dwordx2 v[4:5], v[18:19], off
                                        ; implicit-def: $vgpr6_vgpr7
	s_and_saveexec_b64 s[0:1], s[2:3]
; %bb.122:
	v_add_co_u32_e32 v6, vcc, v0, v13
	v_addc_co_u32_e32 v7, vcc, 0, v1, vcc
	s_or_b64 s[10:11], s[10:11], exec
; %bb.123:
	s_or_b64 exec, exec, s[0:1]
.LBB25_124:
	s_and_saveexec_b64 s[0:1], s[10:11]
	s_cbranch_execnz .LBB25_126
; %bb.125:
	s_endpgm
.LBB25_126:
	v_lshlrev_b32_e32 v4, 3, v2
	v_lshlrev_b64 v[0:1], 3, v[2:3]
	ds_read_b64 v[2:3], v4
	v_mov_b32_e32 v5, s47
	v_add_co_u32_e32 v0, vcc, s46, v0
	v_addc_co_u32_e32 v1, vcc, v5, v1, vcc
	s_waitcnt lgkmcnt(0)
	v_add_co_u32_e32 v2, vcc, v2, v6
	v_addc_co_u32_e32 v3, vcc, v3, v7, vcc
	global_store_dwordx2 v[0:1], v[2:3], off
	s_endpgm
.LBB25_127:
	global_load_dwordx2 v[6:7], v[18:19], off
	s_or_b64 exec, exec, s[28:29]
                                        ; implicit-def: $vgpr8_vgpr9
	s_and_saveexec_b64 s[28:29], s[0:1]
	s_cbranch_execz .LBB25_59
.LBB25_128:
	global_load_dwordx2 v[8:9], v[18:19], off offset:512
	s_or_b64 exec, exec, s[28:29]
                                        ; implicit-def: $vgpr10_vgpr11
	s_and_saveexec_b64 s[0:1], s[2:3]
	s_cbranch_execz .LBB25_60
.LBB25_129:
	global_load_dwordx2 v[10:11], v[18:19], off offset:1024
	s_or_b64 exec, exec, s[0:1]
                                        ; implicit-def: $vgpr12_vgpr13
	s_and_saveexec_b64 s[0:1], s[26:27]
	s_cbranch_execz .LBB25_61
.LBB25_130:
	global_load_dwordx2 v[12:13], v[18:19], off offset:1536
	s_or_b64 exec, exec, s[0:1]
                                        ; implicit-def: $vgpr14_vgpr15
	s_and_saveexec_b64 s[0:1], s[8:9]
	s_cbranch_execz .LBB25_62
.LBB25_131:
	global_load_dwordx2 v[14:15], v[18:19], off offset:2048
	s_or_b64 exec, exec, s[0:1]
                                        ; implicit-def: $vgpr16_vgpr17
	s_and_saveexec_b64 s[0:1], s[10:11]
	s_cbranch_execnz .LBB25_63
	s_branch .LBB25_64
.LBB25_132:
	v_lshlrev_b32_e32 v7, 3, v35
	ds_read_b64 v[8:9], v7
	ds_read_b64 v[10:11], v6 offset:2048
	v_mov_b32_e32 v7, s43
	s_waitcnt lgkmcnt(1)
	v_lshlrev_b64 v[8:9], 3, v[8:9]
	v_add_co_u32_e32 v8, vcc, s42, v8
	v_addc_co_u32_e32 v7, vcc, v7, v9, vcc
	v_add_co_u32_e32 v8, vcc, v8, v6
	v_addc_co_u32_e32 v9, vcc, 0, v7, vcc
	s_waitcnt lgkmcnt(0)
	global_store_dwordx2 v[8:9], v[10:11], off
	s_or_b64 exec, exec, s[0:1]
	s_and_saveexec_b64 s[0:1], s[16:17]
	s_cbranch_execz .LBB25_78
.LBB25_133:
	v_lshlrev_b32_e32 v7, 3, v33
	ds_read_b64 v[8:9], v7
	ds_read_b64 v[10:11], v6 offset:10240
	v_mov_b32_e32 v7, s43
	s_waitcnt lgkmcnt(1)
	v_lshlrev_b64 v[8:9], 3, v[8:9]
	v_add_co_u32_e32 v8, vcc, s42, v8
	v_addc_co_u32_e32 v7, vcc, v7, v9, vcc
	v_lshlrev_b32_e32 v9, 3, v27
	v_add_co_u32_e32 v8, vcc, v8, v9
	v_addc_co_u32_e32 v9, vcc, 0, v7, vcc
	s_waitcnt lgkmcnt(0)
	global_store_dwordx2 v[8:9], v[10:11], off
	s_or_b64 exec, exec, s[0:1]
	s_and_saveexec_b64 s[0:1], s[18:19]
	s_cbranch_execz .LBB25_79
.LBB25_134:
	v_lshlrev_b32_e32 v7, 3, v34
	ds_read_b64 v[8:9], v7
	ds_read_b64 v[10:11], v6 offset:18432
	v_mov_b32_e32 v7, s43
	s_waitcnt lgkmcnt(1)
	v_lshlrev_b64 v[8:9], 3, v[8:9]
	v_add_co_u32_e32 v8, vcc, s42, v8
	v_addc_co_u32_e32 v7, vcc, v7, v9, vcc
	v_lshlrev_b32_e32 v9, 3, v28
	v_add_co_u32_e32 v8, vcc, v8, v9
	v_addc_co_u32_e32 v9, vcc, 0, v7, vcc
	s_waitcnt lgkmcnt(0)
	global_store_dwordx2 v[8:9], v[10:11], off
	s_or_b64 exec, exec, s[0:1]
	s_and_saveexec_b64 s[0:1], s[20:21]
	s_cbranch_execz .LBB25_80
.LBB25_135:
	v_lshlrev_b32_e32 v7, 3, v18
	ds_read_b64 v[8:9], v7
	ds_read_b64 v[10:11], v6 offset:26624
	v_mov_b32_e32 v7, s43
	s_waitcnt lgkmcnt(1)
	v_lshlrev_b64 v[8:9], 3, v[8:9]
	v_add_co_u32_e32 v8, vcc, s42, v8
	v_addc_co_u32_e32 v7, vcc, v7, v9, vcc
	v_lshlrev_b32_e32 v9, 3, v29
	v_add_co_u32_e32 v8, vcc, v8, v9
	v_addc_co_u32_e32 v9, vcc, 0, v7, vcc
	s_waitcnt lgkmcnt(0)
	global_store_dwordx2 v[8:9], v[10:11], off
	s_or_b64 exec, exec, s[0:1]
	s_and_saveexec_b64 s[0:1], s[22:23]
	s_cbranch_execz .LBB25_81
.LBB25_136:
	v_lshlrev_b32_e32 v7, 3, v19
	ds_read_b64 v[8:9], v7
	ds_read_b64 v[10:11], v6 offset:34816
	v_mov_b32_e32 v7, s43
	s_waitcnt lgkmcnt(1)
	v_lshlrev_b64 v[8:9], 3, v[8:9]
	v_add_co_u32_e32 v8, vcc, s42, v8
	v_addc_co_u32_e32 v7, vcc, v7, v9, vcc
	v_lshlrev_b32_e32 v9, 3, v30
	v_add_co_u32_e32 v8, vcc, v8, v9
	v_addc_co_u32_e32 v9, vcc, 0, v7, vcc
	s_waitcnt lgkmcnt(0)
	global_store_dwordx2 v[8:9], v[10:11], off
	s_or_b64 exec, exec, s[0:1]
	s_and_saveexec_b64 s[0:1], s[24:25]
	s_cbranch_execnz .LBB25_82
	s_branch .LBB25_83
	.section	.rodata,"a",@progbits
	.p2align	6, 0x0
	.amdhsa_kernel _ZN7rocprim17ROCPRIM_304000_NS6detail25onesweep_iteration_kernelINS1_34wrapped_radix_sort_onesweep_configINS0_14default_configEtN2at4cuda3cub6detail10OpaqueTypeILi8EEEEELb0EPtSC_PSA_SD_mNS0_19identity_decomposerEEEvT1_T2_T3_T4_jPT5_SK_PNS1_23onesweep_lookback_stateET6_jjj
		.amdhsa_group_segment_fixed_size 51200
		.amdhsa_private_segment_fixed_size 0
		.amdhsa_kernarg_size 336
		.amdhsa_user_sgpr_count 6
		.amdhsa_user_sgpr_private_segment_buffer 1
		.amdhsa_user_sgpr_dispatch_ptr 0
		.amdhsa_user_sgpr_queue_ptr 0
		.amdhsa_user_sgpr_kernarg_segment_ptr 1
		.amdhsa_user_sgpr_dispatch_id 0
		.amdhsa_user_sgpr_flat_scratch_init 0
		.amdhsa_user_sgpr_kernarg_preload_length 0
		.amdhsa_user_sgpr_kernarg_preload_offset 0
		.amdhsa_user_sgpr_private_segment_size 0
		.amdhsa_uses_dynamic_stack 0
		.amdhsa_system_sgpr_private_segment_wavefront_offset 0
		.amdhsa_system_sgpr_workgroup_id_x 1
		.amdhsa_system_sgpr_workgroup_id_y 0
		.amdhsa_system_sgpr_workgroup_id_z 0
		.amdhsa_system_sgpr_workgroup_info 0
		.amdhsa_system_vgpr_workitem_id 2
		.amdhsa_next_free_vgpr 44
		.amdhsa_next_free_sgpr 52
		.amdhsa_accum_offset 44
		.amdhsa_reserve_vcc 1
		.amdhsa_reserve_flat_scratch 0
		.amdhsa_float_round_mode_32 0
		.amdhsa_float_round_mode_16_64 0
		.amdhsa_float_denorm_mode_32 3
		.amdhsa_float_denorm_mode_16_64 3
		.amdhsa_dx10_clamp 1
		.amdhsa_ieee_mode 1
		.amdhsa_fp16_overflow 0
		.amdhsa_tg_split 0
		.amdhsa_exception_fp_ieee_invalid_op 0
		.amdhsa_exception_fp_denorm_src 0
		.amdhsa_exception_fp_ieee_div_zero 0
		.amdhsa_exception_fp_ieee_overflow 0
		.amdhsa_exception_fp_ieee_underflow 0
		.amdhsa_exception_fp_ieee_inexact 0
		.amdhsa_exception_int_div_zero 0
	.end_amdhsa_kernel
	.section	.text._ZN7rocprim17ROCPRIM_304000_NS6detail25onesweep_iteration_kernelINS1_34wrapped_radix_sort_onesweep_configINS0_14default_configEtN2at4cuda3cub6detail10OpaqueTypeILi8EEEEELb0EPtSC_PSA_SD_mNS0_19identity_decomposerEEEvT1_T2_T3_T4_jPT5_SK_PNS1_23onesweep_lookback_stateET6_jjj,"axG",@progbits,_ZN7rocprim17ROCPRIM_304000_NS6detail25onesweep_iteration_kernelINS1_34wrapped_radix_sort_onesweep_configINS0_14default_configEtN2at4cuda3cub6detail10OpaqueTypeILi8EEEEELb0EPtSC_PSA_SD_mNS0_19identity_decomposerEEEvT1_T2_T3_T4_jPT5_SK_PNS1_23onesweep_lookback_stateET6_jjj,comdat
.Lfunc_end25:
	.size	_ZN7rocprim17ROCPRIM_304000_NS6detail25onesweep_iteration_kernelINS1_34wrapped_radix_sort_onesweep_configINS0_14default_configEtN2at4cuda3cub6detail10OpaqueTypeILi8EEEEELb0EPtSC_PSA_SD_mNS0_19identity_decomposerEEEvT1_T2_T3_T4_jPT5_SK_PNS1_23onesweep_lookback_stateET6_jjj, .Lfunc_end25-_ZN7rocprim17ROCPRIM_304000_NS6detail25onesweep_iteration_kernelINS1_34wrapped_radix_sort_onesweep_configINS0_14default_configEtN2at4cuda3cub6detail10OpaqueTypeILi8EEEEELb0EPtSC_PSA_SD_mNS0_19identity_decomposerEEEvT1_T2_T3_T4_jPT5_SK_PNS1_23onesweep_lookback_stateET6_jjj
                                        ; -- End function
	.section	.AMDGPU.csdata,"",@progbits
; Kernel info:
; codeLenInByte = 11276
; NumSgprs: 56
; NumVgprs: 44
; NumAgprs: 0
; TotalNumVgprs: 44
; ScratchSize: 0
; MemoryBound: 0
; FloatMode: 240
; IeeeMode: 1
; LDSByteSize: 51200 bytes/workgroup (compile time only)
; SGPRBlocks: 6
; VGPRBlocks: 5
; NumSGPRsForWavesPerEU: 56
; NumVGPRsForWavesPerEU: 44
; AccumOffset: 44
; Occupancy: 4
; WaveLimiterHint : 1
; COMPUTE_PGM_RSRC2:SCRATCH_EN: 0
; COMPUTE_PGM_RSRC2:USER_SGPR: 6
; COMPUTE_PGM_RSRC2:TRAP_HANDLER: 0
; COMPUTE_PGM_RSRC2:TGID_X_EN: 1
; COMPUTE_PGM_RSRC2:TGID_Y_EN: 0
; COMPUTE_PGM_RSRC2:TGID_Z_EN: 0
; COMPUTE_PGM_RSRC2:TIDIG_COMP_CNT: 2
; COMPUTE_PGM_RSRC3_GFX90A:ACCUM_OFFSET: 10
; COMPUTE_PGM_RSRC3_GFX90A:TG_SPLIT: 0
	.text
	.p2alignl 6, 3212836864
	.fill 256, 4, 3212836864
	.type	__hip_cuid_2b5df4667cb08f3a,@object ; @__hip_cuid_2b5df4667cb08f3a
	.section	.bss,"aw",@nobits
	.globl	__hip_cuid_2b5df4667cb08f3a
__hip_cuid_2b5df4667cb08f3a:
	.byte	0                               ; 0x0
	.size	__hip_cuid_2b5df4667cb08f3a, 1

	.ident	"AMD clang version 19.0.0git (https://github.com/RadeonOpenCompute/llvm-project roc-6.4.0 25133 c7fe45cf4b819c5991fe208aaa96edf142730f1d)"
	.section	".note.GNU-stack","",@progbits
	.addrsig
	.addrsig_sym __hip_cuid_2b5df4667cb08f3a
	.amdgpu_metadata
---
amdhsa.kernels:
  - .agpr_count:     0
    .args:
      - .address_space:  global
        .offset:         0
        .size:           8
        .value_kind:     global_buffer
      - .address_space:  global
        .offset:         8
        .size:           8
        .value_kind:     global_buffer
      - .address_space:  global
        .offset:         16
        .size:           8
        .value_kind:     global_buffer
      - .address_space:  global
        .offset:         24
        .size:           8
        .value_kind:     global_buffer
      - .offset:         32
        .size:           4
        .value_kind:     by_value
      - .offset:         36
        .size:           1
        .value_kind:     by_value
      - .offset:         40
        .size:           4
        .value_kind:     by_value
      - .offset:         44
        .size:           4
        .value_kind:     by_value
      - .offset:         48
        .size:           4
        .value_kind:     hidden_block_count_x
      - .offset:         52
        .size:           4
        .value_kind:     hidden_block_count_y
      - .offset:         56
        .size:           4
        .value_kind:     hidden_block_count_z
      - .offset:         60
        .size:           2
        .value_kind:     hidden_group_size_x
      - .offset:         62
        .size:           2
        .value_kind:     hidden_group_size_y
      - .offset:         64
        .size:           2
        .value_kind:     hidden_group_size_z
      - .offset:         66
        .size:           2
        .value_kind:     hidden_remainder_x
      - .offset:         68
        .size:           2
        .value_kind:     hidden_remainder_y
      - .offset:         70
        .size:           2
        .value_kind:     hidden_remainder_z
      - .offset:         88
        .size:           8
        .value_kind:     hidden_global_offset_x
      - .offset:         96
        .size:           8
        .value_kind:     hidden_global_offset_y
      - .offset:         104
        .size:           8
        .value_kind:     hidden_global_offset_z
      - .offset:         112
        .size:           2
        .value_kind:     hidden_grid_dims
    .group_segment_fixed_size: 8192
    .kernarg_segment_align: 8
    .kernarg_segment_size: 304
    .language:       OpenCL C
    .language_version:
      - 2
      - 0
    .max_flat_workgroup_size: 256
    .name:           _ZN7rocprim17ROCPRIM_304000_NS6detail28radix_sort_block_sort_kernelINS1_36wrapped_radix_sort_block_sort_configINS0_13kernel_configILj256ELj4ELj4294967295EEEtN2at4cuda3cub6detail10OpaqueTypeILi8EEEEELb1EPKtPtPKSB_PSB_NS0_19identity_decomposerEEEvT1_T2_T3_T4_jT5_jj
    .private_segment_fixed_size: 0
    .sgpr_count:     52
    .sgpr_spill_count: 0
    .symbol:         _ZN7rocprim17ROCPRIM_304000_NS6detail28radix_sort_block_sort_kernelINS1_36wrapped_radix_sort_block_sort_configINS0_13kernel_configILj256ELj4ELj4294967295EEEtN2at4cuda3cub6detail10OpaqueTypeILi8EEEEELb1EPKtPtPKSB_PSB_NS0_19identity_decomposerEEEvT1_T2_T3_T4_jT5_jj.kd
    .uniform_work_group_size: 1
    .uses_dynamic_stack: false
    .vgpr_count:     52
    .vgpr_spill_count: 0
    .wavefront_size: 64
  - .agpr_count:     0
    .args:           []
    .group_segment_fixed_size: 0
    .kernarg_segment_align: 4
    .kernarg_segment_size: 0
    .language:       OpenCL C
    .language_version:
      - 2
      - 0
    .max_flat_workgroup_size: 1024
    .name:           _ZN7rocprim17ROCPRIM_304000_NS6detail39device_merge_sort_compile_time_verifierINS1_36wrapped_merge_sort_block_sort_configINS1_28merge_sort_block_sort_configILj256ELj4ELNS0_20block_sort_algorithmE0EEEtN2at4cuda3cub6detail10OpaqueTypeILi8EEEEENS1_37wrapped_merge_sort_block_merge_configINS0_14default_configEtSC_EEEEvv
    .private_segment_fixed_size: 0
    .sgpr_count:     4
    .sgpr_spill_count: 0
    .symbol:         _ZN7rocprim17ROCPRIM_304000_NS6detail39device_merge_sort_compile_time_verifierINS1_36wrapped_merge_sort_block_sort_configINS1_28merge_sort_block_sort_configILj256ELj4ELNS0_20block_sort_algorithmE0EEEtN2at4cuda3cub6detail10OpaqueTypeILi8EEEEENS1_37wrapped_merge_sort_block_merge_configINS0_14default_configEtSC_EEEEvv.kd
    .uniform_work_group_size: 1
    .uses_dynamic_stack: false
    .vgpr_count:     0
    .vgpr_spill_count: 0
    .wavefront_size: 64
  - .agpr_count:     0
    .args:
      - .address_space:  global
        .offset:         0
        .size:           8
        .value_kind:     global_buffer
      - .offset:         8
        .size:           4
        .value_kind:     by_value
      - .offset:         12
        .size:           4
        .value_kind:     by_value
      - .address_space:  global
        .offset:         16
        .size:           8
        .value_kind:     global_buffer
      - .offset:         24
        .size:           1
        .value_kind:     by_value
      - .offset:         28
        .size:           4
        .value_kind:     by_value
    .group_segment_fixed_size: 0
    .kernarg_segment_align: 8
    .kernarg_segment_size: 32
    .language:       OpenCL C
    .language_version:
      - 2
      - 0
    .max_flat_workgroup_size: 128
    .name:           _ZN7rocprim17ROCPRIM_304000_NS6detail45device_block_merge_mergepath_partition_kernelINS1_37wrapped_merge_sort_block_merge_configINS0_14default_configEtN2at4cuda3cub6detail10OpaqueTypeILi8EEEEEPtjNS1_19radix_merge_compareILb1ELb0EtNS0_19identity_decomposerEEEEEvT0_T1_jPSH_T2_SH_
    .private_segment_fixed_size: 0
    .sgpr_count:     11
    .sgpr_spill_count: 0
    .symbol:         _ZN7rocprim17ROCPRIM_304000_NS6detail45device_block_merge_mergepath_partition_kernelINS1_37wrapped_merge_sort_block_merge_configINS0_14default_configEtN2at4cuda3cub6detail10OpaqueTypeILi8EEEEEPtjNS1_19radix_merge_compareILb1ELb0EtNS0_19identity_decomposerEEEEEvT0_T1_jPSH_T2_SH_.kd
    .uniform_work_group_size: 1
    .uses_dynamic_stack: false
    .vgpr_count:     15
    .vgpr_spill_count: 0
    .wavefront_size: 64
  - .agpr_count:     0
    .args:
      - .address_space:  global
        .offset:         0
        .size:           8
        .value_kind:     global_buffer
      - .address_space:  global
        .offset:         8
        .size:           8
        .value_kind:     global_buffer
      - .address_space:  global
        .offset:         16
        .size:           8
        .value_kind:     global_buffer
      - .address_space:  global
        .offset:         24
        .size:           8
        .value_kind:     global_buffer
      - .offset:         32
        .size:           4
        .value_kind:     by_value
      - .offset:         36
        .size:           4
        .value_kind:     by_value
      - .offset:         40
        .size:           4
        .value_kind:     by_value
      - .offset:         44
        .size:           1
        .value_kind:     by_value
      - .address_space:  global
        .offset:         48
        .size:           8
        .value_kind:     global_buffer
      - .address_space:  global
        .offset:         56
        .size:           8
        .value_kind:     global_buffer
      - .offset:         64
        .size:           4
        .value_kind:     hidden_block_count_x
      - .offset:         68
        .size:           4
        .value_kind:     hidden_block_count_y
      - .offset:         72
        .size:           4
        .value_kind:     hidden_block_count_z
      - .offset:         76
        .size:           2
        .value_kind:     hidden_group_size_x
      - .offset:         78
        .size:           2
        .value_kind:     hidden_group_size_y
      - .offset:         80
        .size:           2
        .value_kind:     hidden_group_size_z
      - .offset:         82
        .size:           2
        .value_kind:     hidden_remainder_x
      - .offset:         84
        .size:           2
        .value_kind:     hidden_remainder_y
      - .offset:         86
        .size:           2
        .value_kind:     hidden_remainder_z
      - .offset:         104
        .size:           8
        .value_kind:     hidden_global_offset_x
      - .offset:         112
        .size:           8
        .value_kind:     hidden_global_offset_y
      - .offset:         120
        .size:           8
        .value_kind:     hidden_global_offset_z
      - .offset:         128
        .size:           2
        .value_kind:     hidden_grid_dims
    .group_segment_fixed_size: 8208
    .kernarg_segment_align: 8
    .kernarg_segment_size: 320
    .language:       OpenCL C
    .language_version:
      - 2
      - 0
    .max_flat_workgroup_size: 256
    .name:           _ZN7rocprim17ROCPRIM_304000_NS6detail35device_block_merge_mergepath_kernelINS1_37wrapped_merge_sort_block_merge_configINS0_14default_configEtN2at4cuda3cub6detail10OpaqueTypeILi8EEEEEPtSC_PSA_SD_jNS1_19radix_merge_compareILb1ELb0EtNS0_19identity_decomposerEEEEEvT0_T1_T2_T3_T4_SL_jT5_PKSL_NS1_7vsmem_tE
    .private_segment_fixed_size: 0
    .sgpr_count:     35
    .sgpr_spill_count: 0
    .symbol:         _ZN7rocprim17ROCPRIM_304000_NS6detail35device_block_merge_mergepath_kernelINS1_37wrapped_merge_sort_block_merge_configINS0_14default_configEtN2at4cuda3cub6detail10OpaqueTypeILi8EEEEEPtSC_PSA_SD_jNS1_19radix_merge_compareILb1ELb0EtNS0_19identity_decomposerEEEEEvT0_T1_T2_T3_T4_SL_jT5_PKSL_NS1_7vsmem_tE.kd
    .uniform_work_group_size: 1
    .uses_dynamic_stack: false
    .vgpr_count:     23
    .vgpr_spill_count: 0
    .wavefront_size: 64
  - .agpr_count:     0
    .args:
      - .address_space:  global
        .offset:         0
        .size:           8
        .value_kind:     global_buffer
      - .address_space:  global
        .offset:         8
        .size:           8
        .value_kind:     global_buffer
      - .address_space:  global
        .offset:         16
        .size:           8
        .value_kind:     global_buffer
      - .address_space:  global
        .offset:         24
        .size:           8
        .value_kind:     global_buffer
      - .offset:         32
        .size:           4
        .value_kind:     by_value
      - .offset:         36
        .size:           4
        .value_kind:     by_value
      - .offset:         40
        .size:           1
        .value_kind:     by_value
    .group_segment_fixed_size: 0
    .kernarg_segment_align: 8
    .kernarg_segment_size: 44
    .language:       OpenCL C
    .language_version:
      - 2
      - 0
    .max_flat_workgroup_size: 256
    .name:           _ZN7rocprim17ROCPRIM_304000_NS6detail33device_block_merge_oddeven_kernelINS1_37wrapped_merge_sort_block_merge_configINS0_14default_configEtN2at4cuda3cub6detail10OpaqueTypeILi8EEEEEPtSC_PSA_SD_jNS1_19radix_merge_compareILb1ELb0EtNS0_19identity_decomposerEEEEEvT0_T1_T2_T3_T4_SL_T5_
    .private_segment_fixed_size: 0
    .sgpr_count:     27
    .sgpr_spill_count: 0
    .symbol:         _ZN7rocprim17ROCPRIM_304000_NS6detail33device_block_merge_oddeven_kernelINS1_37wrapped_merge_sort_block_merge_configINS0_14default_configEtN2at4cuda3cub6detail10OpaqueTypeILi8EEEEEPtSC_PSA_SD_jNS1_19radix_merge_compareILb1ELb0EtNS0_19identity_decomposerEEEEEvT0_T1_T2_T3_T4_SL_T5_.kd
    .uniform_work_group_size: 1
    .uses_dynamic_stack: false
    .vgpr_count:     10
    .vgpr_spill_count: 0
    .wavefront_size: 64
  - .agpr_count:     0
    .args:
      - .address_space:  global
        .offset:         0
        .size:           8
        .value_kind:     global_buffer
      - .offset:         8
        .size:           8
        .value_kind:     by_value
      - .address_space:  global
        .offset:         16
        .size:           8
        .value_kind:     global_buffer
      - .offset:         24
        .size:           1
        .value_kind:     by_value
      - .offset:         32
        .size:           4
        .value_kind:     hidden_block_count_x
      - .offset:         36
        .size:           4
        .value_kind:     hidden_block_count_y
      - .offset:         40
        .size:           4
        .value_kind:     hidden_block_count_z
      - .offset:         44
        .size:           2
        .value_kind:     hidden_group_size_x
      - .offset:         46
        .size:           2
        .value_kind:     hidden_group_size_y
      - .offset:         48
        .size:           2
        .value_kind:     hidden_group_size_z
      - .offset:         50
        .size:           2
        .value_kind:     hidden_remainder_x
      - .offset:         52
        .size:           2
        .value_kind:     hidden_remainder_y
      - .offset:         54
        .size:           2
        .value_kind:     hidden_remainder_z
      - .offset:         72
        .size:           8
        .value_kind:     hidden_global_offset_x
      - .offset:         80
        .size:           8
        .value_kind:     hidden_global_offset_y
      - .offset:         88
        .size:           8
        .value_kind:     hidden_global_offset_z
      - .offset:         96
        .size:           2
        .value_kind:     hidden_grid_dims
    .group_segment_fixed_size: 0
    .kernarg_segment_align: 8
    .kernarg_segment_size: 288
    .language:       OpenCL C
    .language_version:
      - 2
      - 0
    .max_flat_workgroup_size: 64
    .name:           _ZN7rocprim17ROCPRIM_304000_NS6detail16transform_kernelINS1_24wrapped_transform_configINS0_14default_configEtEEtPtS6_NS0_8identityItEEEEvT1_mT2_T3_
    .private_segment_fixed_size: 0
    .sgpr_count:     27
    .sgpr_spill_count: 0
    .symbol:         _ZN7rocprim17ROCPRIM_304000_NS6detail16transform_kernelINS1_24wrapped_transform_configINS0_14default_configEtEEtPtS6_NS0_8identityItEEEEvT1_mT2_T3_.kd
    .uniform_work_group_size: 1
    .uses_dynamic_stack: false
    .vgpr_count:     12
    .vgpr_spill_count: 0
    .wavefront_size: 64
  - .agpr_count:     0
    .args:
      - .address_space:  global
        .offset:         0
        .size:           8
        .value_kind:     global_buffer
      - .offset:         8
        .size:           8
        .value_kind:     by_value
      - .address_space:  global
        .offset:         16
        .size:           8
        .value_kind:     global_buffer
      - .offset:         24
        .size:           1
        .value_kind:     by_value
      - .offset:         32
        .size:           4
        .value_kind:     hidden_block_count_x
      - .offset:         36
        .size:           4
        .value_kind:     hidden_block_count_y
      - .offset:         40
        .size:           4
        .value_kind:     hidden_block_count_z
      - .offset:         44
        .size:           2
        .value_kind:     hidden_group_size_x
      - .offset:         46
        .size:           2
        .value_kind:     hidden_group_size_y
      - .offset:         48
        .size:           2
        .value_kind:     hidden_group_size_z
      - .offset:         50
        .size:           2
        .value_kind:     hidden_remainder_x
      - .offset:         52
        .size:           2
        .value_kind:     hidden_remainder_y
      - .offset:         54
        .size:           2
        .value_kind:     hidden_remainder_z
      - .offset:         72
        .size:           8
        .value_kind:     hidden_global_offset_x
      - .offset:         80
        .size:           8
        .value_kind:     hidden_global_offset_y
      - .offset:         88
        .size:           8
        .value_kind:     hidden_global_offset_z
      - .offset:         96
        .size:           2
        .value_kind:     hidden_grid_dims
    .group_segment_fixed_size: 0
    .kernarg_segment_align: 8
    .kernarg_segment_size: 288
    .language:       OpenCL C
    .language_version:
      - 2
      - 0
    .max_flat_workgroup_size: 256
    .name:           _ZN7rocprim17ROCPRIM_304000_NS6detail16transform_kernelINS1_24wrapped_transform_configINS0_14default_configEN2at4cuda3cub6detail10OpaqueTypeILi8EEEEESA_PSA_SC_NS0_8identityISA_EEEEvT1_mT2_T3_
    .private_segment_fixed_size: 0
    .sgpr_count:     16
    .sgpr_spill_count: 0
    .symbol:         _ZN7rocprim17ROCPRIM_304000_NS6detail16transform_kernelINS1_24wrapped_transform_configINS0_14default_configEN2at4cuda3cub6detail10OpaqueTypeILi8EEEEESA_PSA_SC_NS0_8identityISA_EEEEvT1_mT2_T3_.kd
    .uniform_work_group_size: 1
    .uses_dynamic_stack: false
    .vgpr_count:     8
    .vgpr_spill_count: 0
    .wavefront_size: 64
  - .agpr_count:     0
    .args:
      - .address_space:  global
        .offset:         0
        .size:           8
        .value_kind:     global_buffer
      - .offset:         8
        .size:           4
        .value_kind:     by_value
      - .offset:         12
        .size:           4
        .value_kind:     by_value
      - .address_space:  global
        .offset:         16
        .size:           8
        .value_kind:     global_buffer
      - .offset:         24
        .size:           2
        .value_kind:     by_value
      - .offset:         28
        .size:           4
        .value_kind:     by_value
    .group_segment_fixed_size: 0
    .kernarg_segment_align: 8
    .kernarg_segment_size: 32
    .language:       OpenCL C
    .language_version:
      - 2
      - 0
    .max_flat_workgroup_size: 128
    .name:           _ZN7rocprim17ROCPRIM_304000_NS6detail45device_block_merge_mergepath_partition_kernelINS1_37wrapped_merge_sort_block_merge_configINS0_14default_configEtN2at4cuda3cub6detail10OpaqueTypeILi8EEEEEPtjNS1_19radix_merge_compareILb1ELb1EtNS0_19identity_decomposerEEEEEvT0_T1_jPSH_T2_SH_
    .private_segment_fixed_size: 0
    .sgpr_count:     12
    .sgpr_spill_count: 0
    .symbol:         _ZN7rocprim17ROCPRIM_304000_NS6detail45device_block_merge_mergepath_partition_kernelINS1_37wrapped_merge_sort_block_merge_configINS0_14default_configEtN2at4cuda3cub6detail10OpaqueTypeILi8EEEEEPtjNS1_19radix_merge_compareILb1ELb1EtNS0_19identity_decomposerEEEEEvT0_T1_jPSH_T2_SH_.kd
    .uniform_work_group_size: 1
    .uses_dynamic_stack: false
    .vgpr_count:     15
    .vgpr_spill_count: 0
    .wavefront_size: 64
  - .agpr_count:     0
    .args:
      - .address_space:  global
        .offset:         0
        .size:           8
        .value_kind:     global_buffer
      - .address_space:  global
        .offset:         8
        .size:           8
        .value_kind:     global_buffer
      - .address_space:  global
        .offset:         16
        .size:           8
        .value_kind:     global_buffer
      - .address_space:  global
        .offset:         24
        .size:           8
        .value_kind:     global_buffer
      - .offset:         32
        .size:           4
        .value_kind:     by_value
      - .offset:         36
        .size:           4
        .value_kind:     by_value
      - .offset:         40
        .size:           4
        .value_kind:     by_value
      - .offset:         44
        .size:           2
        .value_kind:     by_value
      - .address_space:  global
        .offset:         48
        .size:           8
        .value_kind:     global_buffer
      - .address_space:  global
        .offset:         56
        .size:           8
        .value_kind:     global_buffer
      - .offset:         64
        .size:           4
        .value_kind:     hidden_block_count_x
      - .offset:         68
        .size:           4
        .value_kind:     hidden_block_count_y
      - .offset:         72
        .size:           4
        .value_kind:     hidden_block_count_z
      - .offset:         76
        .size:           2
        .value_kind:     hidden_group_size_x
      - .offset:         78
        .size:           2
        .value_kind:     hidden_group_size_y
      - .offset:         80
        .size:           2
        .value_kind:     hidden_group_size_z
      - .offset:         82
        .size:           2
        .value_kind:     hidden_remainder_x
      - .offset:         84
        .size:           2
        .value_kind:     hidden_remainder_y
      - .offset:         86
        .size:           2
        .value_kind:     hidden_remainder_z
      - .offset:         104
        .size:           8
        .value_kind:     hidden_global_offset_x
      - .offset:         112
        .size:           8
        .value_kind:     hidden_global_offset_y
      - .offset:         120
        .size:           8
        .value_kind:     hidden_global_offset_z
      - .offset:         128
        .size:           2
        .value_kind:     hidden_grid_dims
    .group_segment_fixed_size: 8208
    .kernarg_segment_align: 8
    .kernarg_segment_size: 320
    .language:       OpenCL C
    .language_version:
      - 2
      - 0
    .max_flat_workgroup_size: 256
    .name:           _ZN7rocprim17ROCPRIM_304000_NS6detail35device_block_merge_mergepath_kernelINS1_37wrapped_merge_sort_block_merge_configINS0_14default_configEtN2at4cuda3cub6detail10OpaqueTypeILi8EEEEEPtSC_PSA_SD_jNS1_19radix_merge_compareILb1ELb1EtNS0_19identity_decomposerEEEEEvT0_T1_T2_T3_T4_SL_jT5_PKSL_NS1_7vsmem_tE
    .private_segment_fixed_size: 0
    .sgpr_count:     35
    .sgpr_spill_count: 0
    .symbol:         _ZN7rocprim17ROCPRIM_304000_NS6detail35device_block_merge_mergepath_kernelINS1_37wrapped_merge_sort_block_merge_configINS0_14default_configEtN2at4cuda3cub6detail10OpaqueTypeILi8EEEEEPtSC_PSA_SD_jNS1_19radix_merge_compareILb1ELb1EtNS0_19identity_decomposerEEEEEvT0_T1_T2_T3_T4_SL_jT5_PKSL_NS1_7vsmem_tE.kd
    .uniform_work_group_size: 1
    .uses_dynamic_stack: false
    .vgpr_count:     23
    .vgpr_spill_count: 0
    .wavefront_size: 64
  - .agpr_count:     0
    .args:
      - .address_space:  global
        .offset:         0
        .size:           8
        .value_kind:     global_buffer
      - .address_space:  global
        .offset:         8
        .size:           8
        .value_kind:     global_buffer
      - .address_space:  global
        .offset:         16
        .size:           8
        .value_kind:     global_buffer
      - .address_space:  global
        .offset:         24
        .size:           8
        .value_kind:     global_buffer
      - .offset:         32
        .size:           4
        .value_kind:     by_value
      - .offset:         36
        .size:           4
        .value_kind:     by_value
      - .offset:         40
        .size:           2
        .value_kind:     by_value
    .group_segment_fixed_size: 0
    .kernarg_segment_align: 8
    .kernarg_segment_size: 44
    .language:       OpenCL C
    .language_version:
      - 2
      - 0
    .max_flat_workgroup_size: 256
    .name:           _ZN7rocprim17ROCPRIM_304000_NS6detail33device_block_merge_oddeven_kernelINS1_37wrapped_merge_sort_block_merge_configINS0_14default_configEtN2at4cuda3cub6detail10OpaqueTypeILi8EEEEEPtSC_PSA_SD_jNS1_19radix_merge_compareILb1ELb1EtNS0_19identity_decomposerEEEEEvT0_T1_T2_T3_T4_SL_T5_
    .private_segment_fixed_size: 0
    .sgpr_count:     28
    .sgpr_spill_count: 0
    .symbol:         _ZN7rocprim17ROCPRIM_304000_NS6detail33device_block_merge_oddeven_kernelINS1_37wrapped_merge_sort_block_merge_configINS0_14default_configEtN2at4cuda3cub6detail10OpaqueTypeILi8EEEEEPtSC_PSA_SD_jNS1_19radix_merge_compareILb1ELb1EtNS0_19identity_decomposerEEEEEvT0_T1_T2_T3_T4_SL_T5_.kd
    .uniform_work_group_size: 1
    .uses_dynamic_stack: false
    .vgpr_count:     11
    .vgpr_spill_count: 0
    .wavefront_size: 64
  - .agpr_count:     0
    .args:
      - .address_space:  global
        .offset:         0
        .size:           8
        .value_kind:     global_buffer
      - .address_space:  global
        .offset:         8
        .size:           8
        .value_kind:     global_buffer
      - .offset:         16
        .size:           8
        .value_kind:     by_value
      - .offset:         24
        .size:           8
        .value_kind:     by_value
      - .offset:         32
        .size:           1
        .value_kind:     by_value
      - .offset:         36
        .size:           4
        .value_kind:     by_value
      - .offset:         40
        .size:           4
        .value_kind:     by_value
    .group_segment_fixed_size: 8192
    .kernarg_segment_align: 8
    .kernarg_segment_size: 44
    .language:       OpenCL C
    .language_version:
      - 2
      - 0
    .max_flat_workgroup_size: 1024
    .name:           _ZN7rocprim17ROCPRIM_304000_NS6detail26onesweep_histograms_kernelINS1_34wrapped_radix_sort_onesweep_configINS0_14default_configEtN2at4cuda3cub6detail10OpaqueTypeILi8EEEEELb1EPKtmNS0_19identity_decomposerEEEvT1_PT2_SG_SG_T3_jj
    .private_segment_fixed_size: 0
    .sgpr_count:     30
    .sgpr_spill_count: 0
    .symbol:         _ZN7rocprim17ROCPRIM_304000_NS6detail26onesweep_histograms_kernelINS1_34wrapped_radix_sort_onesweep_configINS0_14default_configEtN2at4cuda3cub6detail10OpaqueTypeILi8EEEEELb1EPKtmNS0_19identity_decomposerEEEvT1_PT2_SG_SG_T3_jj.kd
    .uniform_work_group_size: 1
    .uses_dynamic_stack: false
    .vgpr_count:     18
    .vgpr_spill_count: 0
    .wavefront_size: 64
  - .agpr_count:     0
    .args:
      - .address_space:  global
        .offset:         0
        .size:           8
        .value_kind:     global_buffer
    .group_segment_fixed_size: 128
    .kernarg_segment_align: 8
    .kernarg_segment_size: 8
    .language:       OpenCL C
    .language_version:
      - 2
      - 0
    .max_flat_workgroup_size: 1024
    .name:           _ZN7rocprim17ROCPRIM_304000_NS6detail31onesweep_scan_histograms_kernelINS1_34wrapped_radix_sort_onesweep_configINS0_14default_configEtN2at4cuda3cub6detail10OpaqueTypeILi8EEEEEmEEvPT0_
    .private_segment_fixed_size: 0
    .sgpr_count:     22
    .sgpr_spill_count: 0
    .symbol:         _ZN7rocprim17ROCPRIM_304000_NS6detail31onesweep_scan_histograms_kernelINS1_34wrapped_radix_sort_onesweep_configINS0_14default_configEtN2at4cuda3cub6detail10OpaqueTypeILi8EEEEEmEEvPT0_.kd
    .uniform_work_group_size: 1
    .uses_dynamic_stack: false
    .vgpr_count:     13
    .vgpr_spill_count: 0
    .wavefront_size: 64
  - .agpr_count:     0
    .args:
      - .address_space:  global
        .offset:         0
        .size:           8
        .value_kind:     global_buffer
      - .offset:         8
        .size:           8
        .value_kind:     by_value
      - .address_space:  global
        .offset:         16
        .size:           8
        .value_kind:     global_buffer
      - .offset:         24
        .size:           1
        .value_kind:     by_value
      - .offset:         32
        .size:           4
        .value_kind:     hidden_block_count_x
      - .offset:         36
        .size:           4
        .value_kind:     hidden_block_count_y
      - .offset:         40
        .size:           4
        .value_kind:     hidden_block_count_z
      - .offset:         44
        .size:           2
        .value_kind:     hidden_group_size_x
      - .offset:         46
        .size:           2
        .value_kind:     hidden_group_size_y
      - .offset:         48
        .size:           2
        .value_kind:     hidden_group_size_z
      - .offset:         50
        .size:           2
        .value_kind:     hidden_remainder_x
      - .offset:         52
        .size:           2
        .value_kind:     hidden_remainder_y
      - .offset:         54
        .size:           2
        .value_kind:     hidden_remainder_z
      - .offset:         72
        .size:           8
        .value_kind:     hidden_global_offset_x
      - .offset:         80
        .size:           8
        .value_kind:     hidden_global_offset_y
      - .offset:         88
        .size:           8
        .value_kind:     hidden_global_offset_z
      - .offset:         96
        .size:           2
        .value_kind:     hidden_grid_dims
    .group_segment_fixed_size: 0
    .kernarg_segment_align: 8
    .kernarg_segment_size: 288
    .language:       OpenCL C
    .language_version:
      - 2
      - 0
    .max_flat_workgroup_size: 64
    .name:           _ZN7rocprim17ROCPRIM_304000_NS6detail16transform_kernelINS1_24wrapped_transform_configINS0_14default_configEtEEtPKtPtNS0_8identityItEEEEvT1_mT2_T3_
    .private_segment_fixed_size: 0
    .sgpr_count:     27
    .sgpr_spill_count: 0
    .symbol:         _ZN7rocprim17ROCPRIM_304000_NS6detail16transform_kernelINS1_24wrapped_transform_configINS0_14default_configEtEEtPKtPtNS0_8identityItEEEEvT1_mT2_T3_.kd
    .uniform_work_group_size: 1
    .uses_dynamic_stack: false
    .vgpr_count:     12
    .vgpr_spill_count: 0
    .wavefront_size: 64
  - .agpr_count:     0
    .args:
      - .address_space:  global
        .offset:         0
        .size:           8
        .value_kind:     global_buffer
      - .offset:         8
        .size:           8
        .value_kind:     by_value
      - .address_space:  global
        .offset:         16
        .size:           8
        .value_kind:     global_buffer
      - .offset:         24
        .size:           1
        .value_kind:     by_value
      - .offset:         32
        .size:           4
        .value_kind:     hidden_block_count_x
      - .offset:         36
        .size:           4
        .value_kind:     hidden_block_count_y
      - .offset:         40
        .size:           4
        .value_kind:     hidden_block_count_z
      - .offset:         44
        .size:           2
        .value_kind:     hidden_group_size_x
      - .offset:         46
        .size:           2
        .value_kind:     hidden_group_size_y
      - .offset:         48
        .size:           2
        .value_kind:     hidden_group_size_z
      - .offset:         50
        .size:           2
        .value_kind:     hidden_remainder_x
      - .offset:         52
        .size:           2
        .value_kind:     hidden_remainder_y
      - .offset:         54
        .size:           2
        .value_kind:     hidden_remainder_z
      - .offset:         72
        .size:           8
        .value_kind:     hidden_global_offset_x
      - .offset:         80
        .size:           8
        .value_kind:     hidden_global_offset_y
      - .offset:         88
        .size:           8
        .value_kind:     hidden_global_offset_z
      - .offset:         96
        .size:           2
        .value_kind:     hidden_grid_dims
    .group_segment_fixed_size: 0
    .kernarg_segment_align: 8
    .kernarg_segment_size: 288
    .language:       OpenCL C
    .language_version:
      - 2
      - 0
    .max_flat_workgroup_size: 256
    .name:           _ZN7rocprim17ROCPRIM_304000_NS6detail16transform_kernelINS1_24wrapped_transform_configINS0_14default_configEN2at4cuda3cub6detail10OpaqueTypeILi8EEEEESA_PKSA_PSA_NS0_8identityISA_EEEEvT1_mT2_T3_
    .private_segment_fixed_size: 0
    .sgpr_count:     16
    .sgpr_spill_count: 0
    .symbol:         _ZN7rocprim17ROCPRIM_304000_NS6detail16transform_kernelINS1_24wrapped_transform_configINS0_14default_configEN2at4cuda3cub6detail10OpaqueTypeILi8EEEEESA_PKSA_PSA_NS0_8identityISA_EEEEvT1_mT2_T3_.kd
    .uniform_work_group_size: 1
    .uses_dynamic_stack: false
    .vgpr_count:     8
    .vgpr_spill_count: 0
    .wavefront_size: 64
  - .agpr_count:     0
    .args:
      - .address_space:  global
        .offset:         0
        .size:           8
        .value_kind:     global_buffer
      - .address_space:  global
        .offset:         8
        .size:           8
        .value_kind:     global_buffer
      - .address_space:  global
        .offset:         16
        .size:           8
        .value_kind:     global_buffer
      - .address_space:  global
        .offset:         24
        .size:           8
        .value_kind:     global_buffer
      - .offset:         32
        .size:           4
        .value_kind:     by_value
      - .address_space:  global
        .offset:         40
        .size:           8
        .value_kind:     global_buffer
      - .address_space:  global
        .offset:         48
        .size:           8
        .value_kind:     global_buffer
      - .address_space:  global
        .offset:         56
        .size:           8
        .value_kind:     global_buffer
      - .offset:         64
        .size:           1
        .value_kind:     by_value
      - .offset:         68
        .size:           4
        .value_kind:     by_value
      - .offset:         72
        .size:           4
        .value_kind:     by_value
      - .offset:         76
        .size:           4
        .value_kind:     by_value
      - .offset:         80
        .size:           4
        .value_kind:     hidden_block_count_x
      - .offset:         84
        .size:           4
        .value_kind:     hidden_block_count_y
      - .offset:         88
        .size:           4
        .value_kind:     hidden_block_count_z
      - .offset:         92
        .size:           2
        .value_kind:     hidden_group_size_x
      - .offset:         94
        .size:           2
        .value_kind:     hidden_group_size_y
      - .offset:         96
        .size:           2
        .value_kind:     hidden_group_size_z
      - .offset:         98
        .size:           2
        .value_kind:     hidden_remainder_x
      - .offset:         100
        .size:           2
        .value_kind:     hidden_remainder_y
      - .offset:         102
        .size:           2
        .value_kind:     hidden_remainder_z
      - .offset:         120
        .size:           8
        .value_kind:     hidden_global_offset_x
      - .offset:         128
        .size:           8
        .value_kind:     hidden_global_offset_y
      - .offset:         136
        .size:           8
        .value_kind:     hidden_global_offset_z
      - .offset:         144
        .size:           2
        .value_kind:     hidden_grid_dims
    .group_segment_fixed_size: 51200
    .kernarg_segment_align: 8
    .kernarg_segment_size: 336
    .language:       OpenCL C
    .language_version:
      - 2
      - 0
    .max_flat_workgroup_size: 1024
    .name:           _ZN7rocprim17ROCPRIM_304000_NS6detail25onesweep_iteration_kernelINS1_34wrapped_radix_sort_onesweep_configINS0_14default_configEtN2at4cuda3cub6detail10OpaqueTypeILi8EEEEELb1EPKtPtPKSA_PSA_mNS0_19identity_decomposerEEEvT1_T2_T3_T4_jPT5_SO_PNS1_23onesweep_lookback_stateET6_jjj
    .private_segment_fixed_size: 0
    .sgpr_count:     56
    .sgpr_spill_count: 0
    .symbol:         _ZN7rocprim17ROCPRIM_304000_NS6detail25onesweep_iteration_kernelINS1_34wrapped_radix_sort_onesweep_configINS0_14default_configEtN2at4cuda3cub6detail10OpaqueTypeILi8EEEEELb1EPKtPtPKSA_PSA_mNS0_19identity_decomposerEEEvT1_T2_T3_T4_jPT5_SO_PNS1_23onesweep_lookback_stateET6_jjj.kd
    .uniform_work_group_size: 1
    .uses_dynamic_stack: false
    .vgpr_count:     44
    .vgpr_spill_count: 0
    .wavefront_size: 64
  - .agpr_count:     0
    .args:
      - .address_space:  global
        .offset:         0
        .size:           8
        .value_kind:     global_buffer
      - .address_space:  global
        .offset:         8
        .size:           8
        .value_kind:     global_buffer
      - .address_space:  global
        .offset:         16
        .size:           8
        .value_kind:     global_buffer
      - .address_space:  global
        .offset:         24
        .size:           8
        .value_kind:     global_buffer
      - .offset:         32
        .size:           4
        .value_kind:     by_value
      - .address_space:  global
        .offset:         40
        .size:           8
        .value_kind:     global_buffer
      - .address_space:  global
        .offset:         48
        .size:           8
        .value_kind:     global_buffer
      - .address_space:  global
        .offset:         56
        .size:           8
        .value_kind:     global_buffer
      - .offset:         64
        .size:           1
        .value_kind:     by_value
      - .offset:         68
        .size:           4
        .value_kind:     by_value
      - .offset:         72
        .size:           4
        .value_kind:     by_value
      - .offset:         76
        .size:           4
        .value_kind:     by_value
      - .offset:         80
        .size:           4
        .value_kind:     hidden_block_count_x
      - .offset:         84
        .size:           4
        .value_kind:     hidden_block_count_y
      - .offset:         88
        .size:           4
        .value_kind:     hidden_block_count_z
      - .offset:         92
        .size:           2
        .value_kind:     hidden_group_size_x
      - .offset:         94
        .size:           2
        .value_kind:     hidden_group_size_y
      - .offset:         96
        .size:           2
        .value_kind:     hidden_group_size_z
      - .offset:         98
        .size:           2
        .value_kind:     hidden_remainder_x
      - .offset:         100
        .size:           2
        .value_kind:     hidden_remainder_y
      - .offset:         102
        .size:           2
        .value_kind:     hidden_remainder_z
      - .offset:         120
        .size:           8
        .value_kind:     hidden_global_offset_x
      - .offset:         128
        .size:           8
        .value_kind:     hidden_global_offset_y
      - .offset:         136
        .size:           8
        .value_kind:     hidden_global_offset_z
      - .offset:         144
        .size:           2
        .value_kind:     hidden_grid_dims
    .group_segment_fixed_size: 51200
    .kernarg_segment_align: 8
    .kernarg_segment_size: 336
    .language:       OpenCL C
    .language_version:
      - 2
      - 0
    .max_flat_workgroup_size: 1024
    .name:           _ZN7rocprim17ROCPRIM_304000_NS6detail25onesweep_iteration_kernelINS1_34wrapped_radix_sort_onesweep_configINS0_14default_configEtN2at4cuda3cub6detail10OpaqueTypeILi8EEEEELb1EPtSC_PSA_SD_mNS0_19identity_decomposerEEEvT1_T2_T3_T4_jPT5_SK_PNS1_23onesweep_lookback_stateET6_jjj
    .private_segment_fixed_size: 0
    .sgpr_count:     56
    .sgpr_spill_count: 0
    .symbol:         _ZN7rocprim17ROCPRIM_304000_NS6detail25onesweep_iteration_kernelINS1_34wrapped_radix_sort_onesweep_configINS0_14default_configEtN2at4cuda3cub6detail10OpaqueTypeILi8EEEEELb1EPtSC_PSA_SD_mNS0_19identity_decomposerEEEvT1_T2_T3_T4_jPT5_SK_PNS1_23onesweep_lookback_stateET6_jjj.kd
    .uniform_work_group_size: 1
    .uses_dynamic_stack: false
    .vgpr_count:     44
    .vgpr_spill_count: 0
    .wavefront_size: 64
  - .agpr_count:     0
    .args:
      - .address_space:  global
        .offset:         0
        .size:           8
        .value_kind:     global_buffer
      - .address_space:  global
        .offset:         8
        .size:           8
        .value_kind:     global_buffer
      - .address_space:  global
        .offset:         16
        .size:           8
        .value_kind:     global_buffer
      - .address_space:  global
        .offset:         24
        .size:           8
        .value_kind:     global_buffer
      - .offset:         32
        .size:           4
        .value_kind:     by_value
      - .offset:         36
        .size:           1
        .value_kind:     by_value
      - .offset:         40
        .size:           4
        .value_kind:     by_value
      - .offset:         44
        .size:           4
        .value_kind:     by_value
      - .offset:         48
        .size:           4
        .value_kind:     hidden_block_count_x
      - .offset:         52
        .size:           4
        .value_kind:     hidden_block_count_y
      - .offset:         56
        .size:           4
        .value_kind:     hidden_block_count_z
      - .offset:         60
        .size:           2
        .value_kind:     hidden_group_size_x
      - .offset:         62
        .size:           2
        .value_kind:     hidden_group_size_y
      - .offset:         64
        .size:           2
        .value_kind:     hidden_group_size_z
      - .offset:         66
        .size:           2
        .value_kind:     hidden_remainder_x
      - .offset:         68
        .size:           2
        .value_kind:     hidden_remainder_y
      - .offset:         70
        .size:           2
        .value_kind:     hidden_remainder_z
      - .offset:         88
        .size:           8
        .value_kind:     hidden_global_offset_x
      - .offset:         96
        .size:           8
        .value_kind:     hidden_global_offset_y
      - .offset:         104
        .size:           8
        .value_kind:     hidden_global_offset_z
      - .offset:         112
        .size:           2
        .value_kind:     hidden_grid_dims
    .group_segment_fixed_size: 8192
    .kernarg_segment_align: 8
    .kernarg_segment_size: 304
    .language:       OpenCL C
    .language_version:
      - 2
      - 0
    .max_flat_workgroup_size: 256
    .name:           _ZN7rocprim17ROCPRIM_304000_NS6detail28radix_sort_block_sort_kernelINS1_36wrapped_radix_sort_block_sort_configINS0_13kernel_configILj256ELj4ELj4294967295EEEtN2at4cuda3cub6detail10OpaqueTypeILi8EEEEELb0EPKtPtPKSB_PSB_NS0_19identity_decomposerEEEvT1_T2_T3_T4_jT5_jj
    .private_segment_fixed_size: 0
    .sgpr_count:     52
    .sgpr_spill_count: 0
    .symbol:         _ZN7rocprim17ROCPRIM_304000_NS6detail28radix_sort_block_sort_kernelINS1_36wrapped_radix_sort_block_sort_configINS0_13kernel_configILj256ELj4ELj4294967295EEEtN2at4cuda3cub6detail10OpaqueTypeILi8EEEEELb0EPKtPtPKSB_PSB_NS0_19identity_decomposerEEEvT1_T2_T3_T4_jT5_jj.kd
    .uniform_work_group_size: 1
    .uses_dynamic_stack: false
    .vgpr_count:     50
    .vgpr_spill_count: 0
    .wavefront_size: 64
  - .agpr_count:     0
    .args:
      - .address_space:  global
        .offset:         0
        .size:           8
        .value_kind:     global_buffer
      - .offset:         8
        .size:           4
        .value_kind:     by_value
      - .offset:         12
        .size:           4
        .value_kind:     by_value
      - .address_space:  global
        .offset:         16
        .size:           8
        .value_kind:     global_buffer
      - .offset:         24
        .size:           1
        .value_kind:     by_value
      - .offset:         28
        .size:           4
        .value_kind:     by_value
    .group_segment_fixed_size: 0
    .kernarg_segment_align: 8
    .kernarg_segment_size: 32
    .language:       OpenCL C
    .language_version:
      - 2
      - 0
    .max_flat_workgroup_size: 128
    .name:           _ZN7rocprim17ROCPRIM_304000_NS6detail45device_block_merge_mergepath_partition_kernelINS1_37wrapped_merge_sort_block_merge_configINS0_14default_configEtN2at4cuda3cub6detail10OpaqueTypeILi8EEEEEPtjNS1_19radix_merge_compareILb0ELb0EtNS0_19identity_decomposerEEEEEvT0_T1_jPSH_T2_SH_
    .private_segment_fixed_size: 0
    .sgpr_count:     11
    .sgpr_spill_count: 0
    .symbol:         _ZN7rocprim17ROCPRIM_304000_NS6detail45device_block_merge_mergepath_partition_kernelINS1_37wrapped_merge_sort_block_merge_configINS0_14default_configEtN2at4cuda3cub6detail10OpaqueTypeILi8EEEEEPtjNS1_19radix_merge_compareILb0ELb0EtNS0_19identity_decomposerEEEEEvT0_T1_jPSH_T2_SH_.kd
    .uniform_work_group_size: 1
    .uses_dynamic_stack: false
    .vgpr_count:     15
    .vgpr_spill_count: 0
    .wavefront_size: 64
  - .agpr_count:     0
    .args:
      - .address_space:  global
        .offset:         0
        .size:           8
        .value_kind:     global_buffer
      - .address_space:  global
        .offset:         8
        .size:           8
        .value_kind:     global_buffer
      - .address_space:  global
        .offset:         16
        .size:           8
        .value_kind:     global_buffer
      - .address_space:  global
        .offset:         24
        .size:           8
        .value_kind:     global_buffer
      - .offset:         32
        .size:           4
        .value_kind:     by_value
      - .offset:         36
        .size:           4
        .value_kind:     by_value
      - .offset:         40
        .size:           4
        .value_kind:     by_value
      - .offset:         44
        .size:           1
        .value_kind:     by_value
      - .address_space:  global
        .offset:         48
        .size:           8
        .value_kind:     global_buffer
      - .address_space:  global
        .offset:         56
        .size:           8
        .value_kind:     global_buffer
      - .offset:         64
        .size:           4
        .value_kind:     hidden_block_count_x
      - .offset:         68
        .size:           4
        .value_kind:     hidden_block_count_y
      - .offset:         72
        .size:           4
        .value_kind:     hidden_block_count_z
      - .offset:         76
        .size:           2
        .value_kind:     hidden_group_size_x
      - .offset:         78
        .size:           2
        .value_kind:     hidden_group_size_y
      - .offset:         80
        .size:           2
        .value_kind:     hidden_group_size_z
      - .offset:         82
        .size:           2
        .value_kind:     hidden_remainder_x
      - .offset:         84
        .size:           2
        .value_kind:     hidden_remainder_y
      - .offset:         86
        .size:           2
        .value_kind:     hidden_remainder_z
      - .offset:         104
        .size:           8
        .value_kind:     hidden_global_offset_x
      - .offset:         112
        .size:           8
        .value_kind:     hidden_global_offset_y
      - .offset:         120
        .size:           8
        .value_kind:     hidden_global_offset_z
      - .offset:         128
        .size:           2
        .value_kind:     hidden_grid_dims
    .group_segment_fixed_size: 8208
    .kernarg_segment_align: 8
    .kernarg_segment_size: 320
    .language:       OpenCL C
    .language_version:
      - 2
      - 0
    .max_flat_workgroup_size: 256
    .name:           _ZN7rocprim17ROCPRIM_304000_NS6detail35device_block_merge_mergepath_kernelINS1_37wrapped_merge_sort_block_merge_configINS0_14default_configEtN2at4cuda3cub6detail10OpaqueTypeILi8EEEEEPtSC_PSA_SD_jNS1_19radix_merge_compareILb0ELb0EtNS0_19identity_decomposerEEEEEvT0_T1_T2_T3_T4_SL_jT5_PKSL_NS1_7vsmem_tE
    .private_segment_fixed_size: 0
    .sgpr_count:     35
    .sgpr_spill_count: 0
    .symbol:         _ZN7rocprim17ROCPRIM_304000_NS6detail35device_block_merge_mergepath_kernelINS1_37wrapped_merge_sort_block_merge_configINS0_14default_configEtN2at4cuda3cub6detail10OpaqueTypeILi8EEEEEPtSC_PSA_SD_jNS1_19radix_merge_compareILb0ELb0EtNS0_19identity_decomposerEEEEEvT0_T1_T2_T3_T4_SL_jT5_PKSL_NS1_7vsmem_tE.kd
    .uniform_work_group_size: 1
    .uses_dynamic_stack: false
    .vgpr_count:     23
    .vgpr_spill_count: 0
    .wavefront_size: 64
  - .agpr_count:     0
    .args:
      - .address_space:  global
        .offset:         0
        .size:           8
        .value_kind:     global_buffer
      - .address_space:  global
        .offset:         8
        .size:           8
        .value_kind:     global_buffer
      - .address_space:  global
        .offset:         16
        .size:           8
        .value_kind:     global_buffer
      - .address_space:  global
        .offset:         24
        .size:           8
        .value_kind:     global_buffer
      - .offset:         32
        .size:           4
        .value_kind:     by_value
      - .offset:         36
        .size:           4
        .value_kind:     by_value
      - .offset:         40
        .size:           1
        .value_kind:     by_value
    .group_segment_fixed_size: 0
    .kernarg_segment_align: 8
    .kernarg_segment_size: 44
    .language:       OpenCL C
    .language_version:
      - 2
      - 0
    .max_flat_workgroup_size: 256
    .name:           _ZN7rocprim17ROCPRIM_304000_NS6detail33device_block_merge_oddeven_kernelINS1_37wrapped_merge_sort_block_merge_configINS0_14default_configEtN2at4cuda3cub6detail10OpaqueTypeILi8EEEEEPtSC_PSA_SD_jNS1_19radix_merge_compareILb0ELb0EtNS0_19identity_decomposerEEEEEvT0_T1_T2_T3_T4_SL_T5_
    .private_segment_fixed_size: 0
    .sgpr_count:     27
    .sgpr_spill_count: 0
    .symbol:         _ZN7rocprim17ROCPRIM_304000_NS6detail33device_block_merge_oddeven_kernelINS1_37wrapped_merge_sort_block_merge_configINS0_14default_configEtN2at4cuda3cub6detail10OpaqueTypeILi8EEEEEPtSC_PSA_SD_jNS1_19radix_merge_compareILb0ELb0EtNS0_19identity_decomposerEEEEEvT0_T1_T2_T3_T4_SL_T5_.kd
    .uniform_work_group_size: 1
    .uses_dynamic_stack: false
    .vgpr_count:     10
    .vgpr_spill_count: 0
    .wavefront_size: 64
  - .agpr_count:     0
    .args:
      - .address_space:  global
        .offset:         0
        .size:           8
        .value_kind:     global_buffer
      - .offset:         8
        .size:           4
        .value_kind:     by_value
      - .offset:         12
        .size:           4
        .value_kind:     by_value
      - .address_space:  global
        .offset:         16
        .size:           8
        .value_kind:     global_buffer
      - .offset:         24
        .size:           2
        .value_kind:     by_value
      - .offset:         28
        .size:           4
        .value_kind:     by_value
    .group_segment_fixed_size: 0
    .kernarg_segment_align: 8
    .kernarg_segment_size: 32
    .language:       OpenCL C
    .language_version:
      - 2
      - 0
    .max_flat_workgroup_size: 128
    .name:           _ZN7rocprim17ROCPRIM_304000_NS6detail45device_block_merge_mergepath_partition_kernelINS1_37wrapped_merge_sort_block_merge_configINS0_14default_configEtN2at4cuda3cub6detail10OpaqueTypeILi8EEEEEPtjNS1_19radix_merge_compareILb0ELb1EtNS0_19identity_decomposerEEEEEvT0_T1_jPSH_T2_SH_
    .private_segment_fixed_size: 0
    .sgpr_count:     12
    .sgpr_spill_count: 0
    .symbol:         _ZN7rocprim17ROCPRIM_304000_NS6detail45device_block_merge_mergepath_partition_kernelINS1_37wrapped_merge_sort_block_merge_configINS0_14default_configEtN2at4cuda3cub6detail10OpaqueTypeILi8EEEEEPtjNS1_19radix_merge_compareILb0ELb1EtNS0_19identity_decomposerEEEEEvT0_T1_jPSH_T2_SH_.kd
    .uniform_work_group_size: 1
    .uses_dynamic_stack: false
    .vgpr_count:     15
    .vgpr_spill_count: 0
    .wavefront_size: 64
  - .agpr_count:     0
    .args:
      - .address_space:  global
        .offset:         0
        .size:           8
        .value_kind:     global_buffer
      - .address_space:  global
        .offset:         8
        .size:           8
        .value_kind:     global_buffer
      - .address_space:  global
        .offset:         16
        .size:           8
        .value_kind:     global_buffer
      - .address_space:  global
        .offset:         24
        .size:           8
        .value_kind:     global_buffer
      - .offset:         32
        .size:           4
        .value_kind:     by_value
      - .offset:         36
        .size:           4
        .value_kind:     by_value
      - .offset:         40
        .size:           4
        .value_kind:     by_value
      - .offset:         44
        .size:           2
        .value_kind:     by_value
      - .address_space:  global
        .offset:         48
        .size:           8
        .value_kind:     global_buffer
      - .address_space:  global
        .offset:         56
        .size:           8
        .value_kind:     global_buffer
      - .offset:         64
        .size:           4
        .value_kind:     hidden_block_count_x
      - .offset:         68
        .size:           4
        .value_kind:     hidden_block_count_y
      - .offset:         72
        .size:           4
        .value_kind:     hidden_block_count_z
      - .offset:         76
        .size:           2
        .value_kind:     hidden_group_size_x
      - .offset:         78
        .size:           2
        .value_kind:     hidden_group_size_y
      - .offset:         80
        .size:           2
        .value_kind:     hidden_group_size_z
      - .offset:         82
        .size:           2
        .value_kind:     hidden_remainder_x
      - .offset:         84
        .size:           2
        .value_kind:     hidden_remainder_y
      - .offset:         86
        .size:           2
        .value_kind:     hidden_remainder_z
      - .offset:         104
        .size:           8
        .value_kind:     hidden_global_offset_x
      - .offset:         112
        .size:           8
        .value_kind:     hidden_global_offset_y
      - .offset:         120
        .size:           8
        .value_kind:     hidden_global_offset_z
      - .offset:         128
        .size:           2
        .value_kind:     hidden_grid_dims
    .group_segment_fixed_size: 8208
    .kernarg_segment_align: 8
    .kernarg_segment_size: 320
    .language:       OpenCL C
    .language_version:
      - 2
      - 0
    .max_flat_workgroup_size: 256
    .name:           _ZN7rocprim17ROCPRIM_304000_NS6detail35device_block_merge_mergepath_kernelINS1_37wrapped_merge_sort_block_merge_configINS0_14default_configEtN2at4cuda3cub6detail10OpaqueTypeILi8EEEEEPtSC_PSA_SD_jNS1_19radix_merge_compareILb0ELb1EtNS0_19identity_decomposerEEEEEvT0_T1_T2_T3_T4_SL_jT5_PKSL_NS1_7vsmem_tE
    .private_segment_fixed_size: 0
    .sgpr_count:     35
    .sgpr_spill_count: 0
    .symbol:         _ZN7rocprim17ROCPRIM_304000_NS6detail35device_block_merge_mergepath_kernelINS1_37wrapped_merge_sort_block_merge_configINS0_14default_configEtN2at4cuda3cub6detail10OpaqueTypeILi8EEEEEPtSC_PSA_SD_jNS1_19radix_merge_compareILb0ELb1EtNS0_19identity_decomposerEEEEEvT0_T1_T2_T3_T4_SL_jT5_PKSL_NS1_7vsmem_tE.kd
    .uniform_work_group_size: 1
    .uses_dynamic_stack: false
    .vgpr_count:     23
    .vgpr_spill_count: 0
    .wavefront_size: 64
  - .agpr_count:     0
    .args:
      - .address_space:  global
        .offset:         0
        .size:           8
        .value_kind:     global_buffer
      - .address_space:  global
        .offset:         8
        .size:           8
        .value_kind:     global_buffer
      - .address_space:  global
        .offset:         16
        .size:           8
        .value_kind:     global_buffer
      - .address_space:  global
        .offset:         24
        .size:           8
        .value_kind:     global_buffer
      - .offset:         32
        .size:           4
        .value_kind:     by_value
      - .offset:         36
        .size:           4
        .value_kind:     by_value
      - .offset:         40
        .size:           2
        .value_kind:     by_value
    .group_segment_fixed_size: 0
    .kernarg_segment_align: 8
    .kernarg_segment_size: 44
    .language:       OpenCL C
    .language_version:
      - 2
      - 0
    .max_flat_workgroup_size: 256
    .name:           _ZN7rocprim17ROCPRIM_304000_NS6detail33device_block_merge_oddeven_kernelINS1_37wrapped_merge_sort_block_merge_configINS0_14default_configEtN2at4cuda3cub6detail10OpaqueTypeILi8EEEEEPtSC_PSA_SD_jNS1_19radix_merge_compareILb0ELb1EtNS0_19identity_decomposerEEEEEvT0_T1_T2_T3_T4_SL_T5_
    .private_segment_fixed_size: 0
    .sgpr_count:     28
    .sgpr_spill_count: 0
    .symbol:         _ZN7rocprim17ROCPRIM_304000_NS6detail33device_block_merge_oddeven_kernelINS1_37wrapped_merge_sort_block_merge_configINS0_14default_configEtN2at4cuda3cub6detail10OpaqueTypeILi8EEEEEPtSC_PSA_SD_jNS1_19radix_merge_compareILb0ELb1EtNS0_19identity_decomposerEEEEEvT0_T1_T2_T3_T4_SL_T5_.kd
    .uniform_work_group_size: 1
    .uses_dynamic_stack: false
    .vgpr_count:     11
    .vgpr_spill_count: 0
    .wavefront_size: 64
  - .agpr_count:     0
    .args:
      - .address_space:  global
        .offset:         0
        .size:           8
        .value_kind:     global_buffer
      - .address_space:  global
        .offset:         8
        .size:           8
        .value_kind:     global_buffer
      - .offset:         16
        .size:           8
        .value_kind:     by_value
      - .offset:         24
        .size:           8
        .value_kind:     by_value
      - .offset:         32
        .size:           1
        .value_kind:     by_value
      - .offset:         36
        .size:           4
        .value_kind:     by_value
      - .offset:         40
        .size:           4
        .value_kind:     by_value
    .group_segment_fixed_size: 8192
    .kernarg_segment_align: 8
    .kernarg_segment_size: 44
    .language:       OpenCL C
    .language_version:
      - 2
      - 0
    .max_flat_workgroup_size: 1024
    .name:           _ZN7rocprim17ROCPRIM_304000_NS6detail26onesweep_histograms_kernelINS1_34wrapped_radix_sort_onesweep_configINS0_14default_configEtN2at4cuda3cub6detail10OpaqueTypeILi8EEEEELb0EPKtmNS0_19identity_decomposerEEEvT1_PT2_SG_SG_T3_jj
    .private_segment_fixed_size: 0
    .sgpr_count:     30
    .sgpr_spill_count: 0
    .symbol:         _ZN7rocprim17ROCPRIM_304000_NS6detail26onesweep_histograms_kernelINS1_34wrapped_radix_sort_onesweep_configINS0_14default_configEtN2at4cuda3cub6detail10OpaqueTypeILi8EEEEELb0EPKtmNS0_19identity_decomposerEEEvT1_PT2_SG_SG_T3_jj.kd
    .uniform_work_group_size: 1
    .uses_dynamic_stack: false
    .vgpr_count:     19
    .vgpr_spill_count: 0
    .wavefront_size: 64
  - .agpr_count:     0
    .args:
      - .address_space:  global
        .offset:         0
        .size:           8
        .value_kind:     global_buffer
      - .address_space:  global
        .offset:         8
        .size:           8
        .value_kind:     global_buffer
      - .address_space:  global
        .offset:         16
        .size:           8
        .value_kind:     global_buffer
      - .address_space:  global
        .offset:         24
        .size:           8
        .value_kind:     global_buffer
      - .offset:         32
        .size:           4
        .value_kind:     by_value
      - .address_space:  global
        .offset:         40
        .size:           8
        .value_kind:     global_buffer
      - .address_space:  global
        .offset:         48
        .size:           8
        .value_kind:     global_buffer
      - .address_space:  global
        .offset:         56
        .size:           8
        .value_kind:     global_buffer
      - .offset:         64
        .size:           1
        .value_kind:     by_value
      - .offset:         68
        .size:           4
        .value_kind:     by_value
      - .offset:         72
        .size:           4
        .value_kind:     by_value
      - .offset:         76
        .size:           4
        .value_kind:     by_value
      - .offset:         80
        .size:           4
        .value_kind:     hidden_block_count_x
      - .offset:         84
        .size:           4
        .value_kind:     hidden_block_count_y
      - .offset:         88
        .size:           4
        .value_kind:     hidden_block_count_z
      - .offset:         92
        .size:           2
        .value_kind:     hidden_group_size_x
      - .offset:         94
        .size:           2
        .value_kind:     hidden_group_size_y
      - .offset:         96
        .size:           2
        .value_kind:     hidden_group_size_z
      - .offset:         98
        .size:           2
        .value_kind:     hidden_remainder_x
      - .offset:         100
        .size:           2
        .value_kind:     hidden_remainder_y
      - .offset:         102
        .size:           2
        .value_kind:     hidden_remainder_z
      - .offset:         120
        .size:           8
        .value_kind:     hidden_global_offset_x
      - .offset:         128
        .size:           8
        .value_kind:     hidden_global_offset_y
      - .offset:         136
        .size:           8
        .value_kind:     hidden_global_offset_z
      - .offset:         144
        .size:           2
        .value_kind:     hidden_grid_dims
    .group_segment_fixed_size: 51200
    .kernarg_segment_align: 8
    .kernarg_segment_size: 336
    .language:       OpenCL C
    .language_version:
      - 2
      - 0
    .max_flat_workgroup_size: 1024
    .name:           _ZN7rocprim17ROCPRIM_304000_NS6detail25onesweep_iteration_kernelINS1_34wrapped_radix_sort_onesweep_configINS0_14default_configEtN2at4cuda3cub6detail10OpaqueTypeILi8EEEEELb0EPKtPtPKSA_PSA_mNS0_19identity_decomposerEEEvT1_T2_T3_T4_jPT5_SO_PNS1_23onesweep_lookback_stateET6_jjj
    .private_segment_fixed_size: 0
    .sgpr_count:     56
    .sgpr_spill_count: 0
    .symbol:         _ZN7rocprim17ROCPRIM_304000_NS6detail25onesweep_iteration_kernelINS1_34wrapped_radix_sort_onesweep_configINS0_14default_configEtN2at4cuda3cub6detail10OpaqueTypeILi8EEEEELb0EPKtPtPKSA_PSA_mNS0_19identity_decomposerEEEvT1_T2_T3_T4_jPT5_SO_PNS1_23onesweep_lookback_stateET6_jjj.kd
    .uniform_work_group_size: 1
    .uses_dynamic_stack: false
    .vgpr_count:     44
    .vgpr_spill_count: 0
    .wavefront_size: 64
  - .agpr_count:     0
    .args:
      - .address_space:  global
        .offset:         0
        .size:           8
        .value_kind:     global_buffer
      - .address_space:  global
        .offset:         8
        .size:           8
        .value_kind:     global_buffer
      - .address_space:  global
        .offset:         16
        .size:           8
        .value_kind:     global_buffer
      - .address_space:  global
        .offset:         24
        .size:           8
        .value_kind:     global_buffer
      - .offset:         32
        .size:           4
        .value_kind:     by_value
      - .address_space:  global
        .offset:         40
        .size:           8
        .value_kind:     global_buffer
      - .address_space:  global
        .offset:         48
        .size:           8
        .value_kind:     global_buffer
      - .address_space:  global
        .offset:         56
        .size:           8
        .value_kind:     global_buffer
      - .offset:         64
        .size:           1
        .value_kind:     by_value
      - .offset:         68
        .size:           4
        .value_kind:     by_value
      - .offset:         72
        .size:           4
        .value_kind:     by_value
      - .offset:         76
        .size:           4
        .value_kind:     by_value
      - .offset:         80
        .size:           4
        .value_kind:     hidden_block_count_x
      - .offset:         84
        .size:           4
        .value_kind:     hidden_block_count_y
      - .offset:         88
        .size:           4
        .value_kind:     hidden_block_count_z
      - .offset:         92
        .size:           2
        .value_kind:     hidden_group_size_x
      - .offset:         94
        .size:           2
        .value_kind:     hidden_group_size_y
      - .offset:         96
        .size:           2
        .value_kind:     hidden_group_size_z
      - .offset:         98
        .size:           2
        .value_kind:     hidden_remainder_x
      - .offset:         100
        .size:           2
        .value_kind:     hidden_remainder_y
      - .offset:         102
        .size:           2
        .value_kind:     hidden_remainder_z
      - .offset:         120
        .size:           8
        .value_kind:     hidden_global_offset_x
      - .offset:         128
        .size:           8
        .value_kind:     hidden_global_offset_y
      - .offset:         136
        .size:           8
        .value_kind:     hidden_global_offset_z
      - .offset:         144
        .size:           2
        .value_kind:     hidden_grid_dims
    .group_segment_fixed_size: 51200
    .kernarg_segment_align: 8
    .kernarg_segment_size: 336
    .language:       OpenCL C
    .language_version:
      - 2
      - 0
    .max_flat_workgroup_size: 1024
    .name:           _ZN7rocprim17ROCPRIM_304000_NS6detail25onesweep_iteration_kernelINS1_34wrapped_radix_sort_onesweep_configINS0_14default_configEtN2at4cuda3cub6detail10OpaqueTypeILi8EEEEELb0EPtSC_PSA_SD_mNS0_19identity_decomposerEEEvT1_T2_T3_T4_jPT5_SK_PNS1_23onesweep_lookback_stateET6_jjj
    .private_segment_fixed_size: 0
    .sgpr_count:     56
    .sgpr_spill_count: 0
    .symbol:         _ZN7rocprim17ROCPRIM_304000_NS6detail25onesweep_iteration_kernelINS1_34wrapped_radix_sort_onesweep_configINS0_14default_configEtN2at4cuda3cub6detail10OpaqueTypeILi8EEEEELb0EPtSC_PSA_SD_mNS0_19identity_decomposerEEEvT1_T2_T3_T4_jPT5_SK_PNS1_23onesweep_lookback_stateET6_jjj.kd
    .uniform_work_group_size: 1
    .uses_dynamic_stack: false
    .vgpr_count:     44
    .vgpr_spill_count: 0
    .wavefront_size: 64
amdhsa.target:   amdgcn-amd-amdhsa--gfx90a
amdhsa.version:
  - 1
  - 2
...

	.end_amdgpu_metadata
